;; amdgpu-corpus repo=zjin-lcf/HeCBench kind=compiled arch=gfx1250 opt=O3
	.amdgcn_target "amdgcn-amd-amdhsa--gfx1250"
	.amdhsa_code_object_version 6
	.text
	.protected	_Z18reduce_card_devicePii ; -- Begin function _Z18reduce_card_devicePii
	.globl	_Z18reduce_card_devicePii
	.p2align	8
	.type	_Z18reduce_card_devicePii,@function
_Z18reduce_card_devicePii:              ; @_Z18reduce_card_devicePii
; %bb.0:
	s_load_b96 s[0:2], s[0:1], 0x0
	s_wait_kmcnt 0x0
	s_cmp_lt_i32 s2, 1
	s_cbranch_scc1 .LBB0_5
; %bb.1:
	s_lshl_b32 s6, s2, 1
	s_add_nc_u64 s[2:3], s[0:1], 4
	s_mov_b32 s4, -1
	s_mov_b32 s7, 0
                                        ; implicit-def: $sgpr5
	s_branch .LBB0_3
.LBB0_2:                                ;   in Loop: Header=BB0_3 Depth=1
	s_add_co_i32 s7, s7, 2
	s_wait_xcnt 0x0
	s_add_nc_u64 s[2:3], s[2:3], 8
	s_cmp_lt_i32 s7, s6
	s_cbranch_scc0 .LBB0_6
.LBB0_3:                                ; =>This Inner Loop Header: Depth=1
	s_add_nc_u64 s[8:9], s[2:3], -4
	s_load_b32 s8, s[8:9], 0x0
	s_wait_kmcnt 0x0
	s_cmp_le_i32 s8, s4
	s_cbranch_scc1 .LBB0_2
; %bb.4:                                ;   in Loop: Header=BB0_3 Depth=1
	s_load_b32 s5, s[2:3], 0x0
	s_mov_b32 s4, s8
	s_branch .LBB0_2
.LBB0_5:
	s_mov_b32 s4, -1
                                        ; implicit-def: $sgpr5
.LBB0_6:
	s_wait_kmcnt 0x0
	v_dual_mov_b32 v0, s4 :: v_dual_mov_b32 v1, s5
	v_mov_b32_e32 v2, 0
	global_store_b64 v2, v[0:1], s[0:1]
	s_endpgm
	.section	.rodata,"a",@progbits
	.p2align	6, 0x0
	.amdhsa_kernel _Z18reduce_card_devicePii
		.amdhsa_group_segment_fixed_size 0
		.amdhsa_private_segment_fixed_size 0
		.amdhsa_kernarg_size 12
		.amdhsa_user_sgpr_count 2
		.amdhsa_user_sgpr_dispatch_ptr 0
		.amdhsa_user_sgpr_queue_ptr 0
		.amdhsa_user_sgpr_kernarg_segment_ptr 1
		.amdhsa_user_sgpr_dispatch_id 0
		.amdhsa_user_sgpr_kernarg_preload_length 0
		.amdhsa_user_sgpr_kernarg_preload_offset 0
		.amdhsa_user_sgpr_private_segment_size 0
		.amdhsa_wavefront_size32 1
		.amdhsa_uses_dynamic_stack 0
		.amdhsa_enable_private_segment 0
		.amdhsa_system_sgpr_workgroup_id_x 1
		.amdhsa_system_sgpr_workgroup_id_y 0
		.amdhsa_system_sgpr_workgroup_id_z 0
		.amdhsa_system_sgpr_workgroup_info 0
		.amdhsa_system_vgpr_workitem_id 0
		.amdhsa_next_free_vgpr 3
		.amdhsa_next_free_sgpr 10
		.amdhsa_named_barrier_count 0
		.amdhsa_reserve_vcc 0
		.amdhsa_float_round_mode_32 0
		.amdhsa_float_round_mode_16_64 0
		.amdhsa_float_denorm_mode_32 3
		.amdhsa_float_denorm_mode_16_64 3
		.amdhsa_fp16_overflow 0
		.amdhsa_memory_ordered 1
		.amdhsa_forward_progress 1
		.amdhsa_inst_pref_size 2
		.amdhsa_round_robin_scheduling 0
		.amdhsa_exception_fp_ieee_invalid_op 0
		.amdhsa_exception_fp_denorm_src 0
		.amdhsa_exception_fp_ieee_div_zero 0
		.amdhsa_exception_fp_ieee_overflow 0
		.amdhsa_exception_fp_ieee_underflow 0
		.amdhsa_exception_fp_ieee_inexact 0
		.amdhsa_exception_int_div_zero 0
	.end_amdhsa_kernel
	.text
.Lfunc_end0:
	.size	_Z18reduce_card_devicePii, .Lfunc_end0-_Z18reduce_card_devicePii
                                        ; -- End function
	.set _Z18reduce_card_devicePii.num_vgpr, 3
	.set _Z18reduce_card_devicePii.num_agpr, 0
	.set _Z18reduce_card_devicePii.numbered_sgpr, 10
	.set _Z18reduce_card_devicePii.num_named_barrier, 0
	.set _Z18reduce_card_devicePii.private_seg_size, 0
	.set _Z18reduce_card_devicePii.uses_vcc, 0
	.set _Z18reduce_card_devicePii.uses_flat_scratch, 0
	.set _Z18reduce_card_devicePii.has_dyn_sized_stack, 0
	.set _Z18reduce_card_devicePii.has_recursion, 0
	.set _Z18reduce_card_devicePii.has_indirect_call, 0
	.section	.AMDGPU.csdata,"",@progbits
; Kernel info:
; codeLenInByte = 136
; TotalNumSgprs: 10
; NumVgprs: 3
; ScratchSize: 0
; MemoryBound: 0
; FloatMode: 240
; IeeeMode: 1
; LDSByteSize: 0 bytes/workgroup (compile time only)
; SGPRBlocks: 0
; VGPRBlocks: 0
; NumSGPRsForWavesPerEU: 10
; NumVGPRsForWavesPerEU: 3
; NamedBarCnt: 0
; Occupancy: 16
; WaveLimiterHint : 0
; COMPUTE_PGM_RSRC2:SCRATCH_EN: 0
; COMPUTE_PGM_RSRC2:USER_SGPR: 2
; COMPUTE_PGM_RSRC2:TRAP_HANDLER: 0
; COMPUTE_PGM_RSRC2:TGID_X_EN: 1
; COMPUTE_PGM_RSRC2:TGID_Y_EN: 0
; COMPUTE_PGM_RSRC2:TGID_Z_EN: 0
; COMPUTE_PGM_RSRC2:TIDIG_COMP_CNT: 0
	.text
	.protected	_Z15compute_degreesPiS_ii ; -- Begin function _Z15compute_degreesPiS_ii
	.globl	_Z15compute_degreesPiS_ii
	.p2align	8
	.type	_Z15compute_degreesPiS_ii,@function
_Z15compute_degreesPiS_ii:              ; @_Z15compute_degreesPiS_ii
; %bb.0:
	s_load_b96 s[4:6], s[0:1], 0x10
	s_wait_kmcnt 0x0
	s_abs_i32 s2, s6
	s_add_co_i32 s8, s4, s6
	s_cvt_f32_u32 s3, s2
	s_sub_co_i32 s7, 0, s2
	s_add_co_i32 s8, s8, -1
	s_delay_alu instid0(SALU_CYCLE_1) | instskip(SKIP_2) | instid1(SALU_CYCLE_1)
	s_abs_i32 s9, s8
	v_rcp_iflag_f32_e32 v1, s3
	s_xor_b32 s6, s8, s6
	s_ashr_i32 s6, s6, 31
	v_nop
	s_delay_alu instid0(TRANS32_DEP_1) | instskip(SKIP_1) | instid1(SALU_CYCLE_3)
	v_readfirstlane_b32 s3, v1
	s_mul_f32 s3, s3, 0x4f7ffffe
	s_cvt_u32_f32 s3, s3
	s_delay_alu instid0(SALU_CYCLE_3) | instskip(NEXT) | instid1(SALU_CYCLE_1)
	s_mul_i32 s7, s7, s3
	s_mul_hi_u32 s7, s3, s7
	s_delay_alu instid0(SALU_CYCLE_1) | instskip(NEXT) | instid1(SALU_CYCLE_1)
	s_add_co_i32 s3, s3, s7
	s_mul_hi_u32 s3, s9, s3
	s_delay_alu instid0(SALU_CYCLE_1) | instskip(SKIP_2) | instid1(SALU_CYCLE_1)
	s_mul_i32 s7, s3, s2
	s_add_co_i32 s8, s3, 1
	s_sub_co_i32 s7, s9, s7
	s_sub_co_i32 s9, s7, s2
	s_cmp_ge_u32 s7, s2
	s_cselect_b32 s3, s8, s3
	s_cselect_b32 s7, s9, s7
	s_add_co_i32 s8, s3, 1
	s_cmp_ge_u32 s7, s2
	s_cselect_b32 s2, s8, s3
	s_bfe_u32 s7, ttmp6, 0x4000c
	s_xor_b32 s2, s2, s6
	s_add_co_i32 s7, s7, 1
	s_and_b32 s3, ttmp6, 15
	s_sub_co_i32 s2, s2, s6
	s_mul_i32 s6, ttmp9, s7
	s_getreg_b32 s7, hwreg(HW_REG_IB_STS2, 6, 4)
	s_add_co_i32 s3, s3, s6
	s_cmp_eq_u32 s7, 0
	s_cselect_b32 s3, ttmp9, s3
	s_delay_alu instid0(SALU_CYCLE_1) | instskip(NEXT) | instid1(SALU_CYCLE_1)
	s_mul_i32 s6, s2, s3
	s_sub_co_i32 s3, s4, s6
	s_add_co_i32 s7, s6, s2
	s_max_i32 s3, s3, 0
	s_cmp_gt_i32 s7, s4
	s_cselect_b32 s4, s3, s2
	s_mov_b32 s3, 0
	s_mov_b32 s2, exec_lo
	v_cmpx_gt_i32_e64 s4, v0
	s_cbranch_execz .LBB1_11
; %bb.1:
	s_add_nc_u64 s[8:9], s[0:1], 24
	s_mul_i32 s14, s6, s5
	s_load_b32 s2, s[8:9], 0xc
	s_load_b128 s[16:19], s[0:1], 0x0
	s_ashr_i32 s7, s6, 31
	s_ashr_i32 s15, s14, 31
	s_wait_xcnt 0x0
	s_lshl_b64 s[0:1], s[6:7], 2
	v_mul_lo_u32 v2, v0, s5
	v_mov_b32_e32 v3, 0
	s_mov_b32 s9, 0
	s_wait_kmcnt 0x0
	s_and_b32 s8, s2, 0xffff
	s_cmp_gt_i32 s5, 0
	s_add_nc_u64 s[0:1], s[18:19], s[0:1]
	s_cselect_b32 s10, -1, 0
	s_cmp_lg_u32 s5, 1
	s_cselect_b32 s11, -1, 0
	s_and_b32 s12, s5, 0x7ffffffe
	s_delay_alu instid0(SALU_CYCLE_1)
	s_cmp_lg_u32 s5, s12
	s_cselect_b32 s13, -1, 0
	s_lshl_b64 s[6:7], s[14:15], 2
	s_mul_i32 s14, s5, s8
	s_add_nc_u64 s[6:7], s[16:17], s[6:7]
	s_mov_b32 s15, 0
	s_branch .LBB1_3
.LBB1_2:                                ;   in Loop: Header=BB1_3 Depth=1
	v_add_nc_u32_e32 v4, s15, v0
	s_add_co_i32 s15, s15, s8
	s_delay_alu instid0(SALU_CYCLE_1)
	v_dual_add_nc_u32 v2, s14, v2 :: v_dual_add_nc_u32 v5, s15, v0
	global_store_b32 v4, v1, s[0:1] scale_offset
	v_cmp_le_i32_e32 vcc_lo, s4, v5
	s_or_b32 s9, vcc_lo, s9
	s_wait_xcnt 0x0
	s_and_not1_b32 exec_lo, exec_lo, s9
	s_cbranch_execz .LBB1_11
.LBB1_3:                                ; =>This Loop Header: Depth=1
                                        ;     Child Loop BB1_6 Depth 2
                                        ;     Child Loop BB1_10 Depth 2
	v_mov_b32_e32 v1, v3
	s_and_not1_b32 vcc_lo, exec_lo, s10
	s_cbranch_vccnz .LBB1_2
; %bb.4:                                ;   in Loop: Header=BB1_3 Depth=1
	s_and_not1_b32 vcc_lo, exec_lo, s11
	s_cbranch_vccnz .LBB1_8
; %bb.5:                                ;   in Loop: Header=BB1_3 Depth=1
	v_lshl_add_u64 v[4:5], v[2:3], 2, s[6:7]
	v_dual_mov_b32 v1, 0 :: v_dual_mov_b32 v6, 0
	s_mov_b32 s2, s12
.LBB1_6:                                ;   Parent Loop BB1_3 Depth=1
                                        ; =>  This Inner Loop Header: Depth=2
	global_load_b64 v[8:9], v[4:5], off
	s_wait_xcnt 0x0
	v_add_nc_u64_e32 v[4:5], 8, v[4:5]
	s_add_co_i32 s2, s2, -2
	s_delay_alu instid0(SALU_CYCLE_1) | instskip(SKIP_3) | instid1(VALU_DEP_1)
	s_cmp_lg_u32 s2, 0
	s_wait_loadcnt 0x0
	v_not_b32_e32 v7, v9
	v_not_b32_e32 v8, v8
	v_dual_lshrrev_b32 v7, 31, v7 :: v_dual_lshrrev_b32 v8, 31, v8
	s_delay_alu instid0(VALU_DEP_1)
	v_dual_add_nc_u32 v6, v6, v7 :: v_dual_add_nc_u32 v1, v1, v8
	s_cbranch_scc1 .LBB1_6
; %bb.7:                                ;   in Loop: Header=BB1_3 Depth=1
	s_delay_alu instid0(VALU_DEP_1) | instskip(SKIP_2) | instid1(SALU_CYCLE_1)
	v_add_nc_u32_e32 v1, v1, v6
	s_mov_b32 s2, s12
	s_mov_b32 s16, s13
	s_and_b32 vcc_lo, exec_lo, s16
	s_cbranch_vccz .LBB1_2
	s_branch .LBB1_9
.LBB1_8:                                ;   in Loop: Header=BB1_3 Depth=1
	v_mov_b32_e32 v1, 0
	s_mov_b32 s2, 0
	s_cbranch_execz .LBB1_2
.LBB1_9:                                ;   in Loop: Header=BB1_3 Depth=1
	v_add_nc_u64_e32 v[4:5], s[2:3], v[2:3]
	s_sub_co_i32 s2, s5, s2
	s_delay_alu instid0(VALU_DEP_1)
	v_lshl_add_u64 v[4:5], v[4:5], 2, s[6:7]
.LBB1_10:                               ;   Parent Loop BB1_3 Depth=1
                                        ; =>  This Inner Loop Header: Depth=2
	global_load_b32 v6, v[4:5], off
	s_wait_xcnt 0x0
	v_add_nc_u64_e32 v[4:5], 4, v[4:5]
	s_add_co_i32 s2, s2, -1
	s_delay_alu instid0(SALU_CYCLE_1) | instskip(SKIP_2) | instid1(VALU_DEP_1)
	s_cmp_eq_u32 s2, 0
	s_wait_loadcnt 0x0
	v_not_b32_e32 v6, v6
	v_lshrrev_b32_e32 v6, 31, v6
	s_delay_alu instid0(VALU_DEP_1)
	v_add_nc_u32_e32 v1, v1, v6
	s_cbranch_scc0 .LBB1_10
	s_branch .LBB1_2
.LBB1_11:
	s_endpgm
	.section	.rodata,"a",@progbits
	.p2align	6, 0x0
	.amdhsa_kernel _Z15compute_degreesPiS_ii
		.amdhsa_group_segment_fixed_size 0
		.amdhsa_private_segment_fixed_size 0
		.amdhsa_kernarg_size 280
		.amdhsa_user_sgpr_count 2
		.amdhsa_user_sgpr_dispatch_ptr 0
		.amdhsa_user_sgpr_queue_ptr 0
		.amdhsa_user_sgpr_kernarg_segment_ptr 1
		.amdhsa_user_sgpr_dispatch_id 0
		.amdhsa_user_sgpr_kernarg_preload_length 0
		.amdhsa_user_sgpr_kernarg_preload_offset 0
		.amdhsa_user_sgpr_private_segment_size 0
		.amdhsa_wavefront_size32 1
		.amdhsa_uses_dynamic_stack 0
		.amdhsa_enable_private_segment 0
		.amdhsa_system_sgpr_workgroup_id_x 1
		.amdhsa_system_sgpr_workgroup_id_y 0
		.amdhsa_system_sgpr_workgroup_id_z 0
		.amdhsa_system_sgpr_workgroup_info 0
		.amdhsa_system_vgpr_workitem_id 0
		.amdhsa_next_free_vgpr 10
		.amdhsa_next_free_sgpr 20
		.amdhsa_named_barrier_count 0
		.amdhsa_reserve_vcc 1
		.amdhsa_float_round_mode_32 0
		.amdhsa_float_round_mode_16_64 0
		.amdhsa_float_denorm_mode_32 3
		.amdhsa_float_denorm_mode_16_64 3
		.amdhsa_fp16_overflow 0
		.amdhsa_memory_ordered 1
		.amdhsa_forward_progress 1
		.amdhsa_inst_pref_size 6
		.amdhsa_round_robin_scheduling 0
		.amdhsa_exception_fp_ieee_invalid_op 0
		.amdhsa_exception_fp_denorm_src 0
		.amdhsa_exception_fp_ieee_div_zero 0
		.amdhsa_exception_fp_ieee_overflow 0
		.amdhsa_exception_fp_ieee_underflow 0
		.amdhsa_exception_fp_ieee_inexact 0
		.amdhsa_exception_int_div_zero 0
	.end_amdhsa_kernel
	.text
.Lfunc_end1:
	.size	_Z15compute_degreesPiS_ii, .Lfunc_end1-_Z15compute_degreesPiS_ii
                                        ; -- End function
	.set _Z15compute_degreesPiS_ii.num_vgpr, 10
	.set _Z15compute_degreesPiS_ii.num_agpr, 0
	.set _Z15compute_degreesPiS_ii.numbered_sgpr, 20
	.set _Z15compute_degreesPiS_ii.num_named_barrier, 0
	.set _Z15compute_degreesPiS_ii.private_seg_size, 0
	.set _Z15compute_degreesPiS_ii.uses_vcc, 1
	.set _Z15compute_degreesPiS_ii.uses_flat_scratch, 0
	.set _Z15compute_degreesPiS_ii.has_dyn_sized_stack, 0
	.set _Z15compute_degreesPiS_ii.has_recursion, 0
	.set _Z15compute_degreesPiS_ii.has_indirect_call, 0
	.section	.AMDGPU.csdata,"",@progbits
; Kernel info:
; codeLenInByte = 660
; TotalNumSgprs: 22
; NumVgprs: 10
; ScratchSize: 0
; MemoryBound: 0
; FloatMode: 240
; IeeeMode: 1
; LDSByteSize: 0 bytes/workgroup (compile time only)
; SGPRBlocks: 0
; VGPRBlocks: 0
; NumSGPRsForWavesPerEU: 22
; NumVGPRsForWavesPerEU: 10
; NamedBarCnt: 0
; Occupancy: 16
; WaveLimiterHint : 0
; COMPUTE_PGM_RSRC2:SCRATCH_EN: 0
; COMPUTE_PGM_RSRC2:USER_SGPR: 2
; COMPUTE_PGM_RSRC2:TRAP_HANDLER: 0
; COMPUTE_PGM_RSRC2:TGID_X_EN: 1
; COMPUTE_PGM_RSRC2:TGID_Y_EN: 0
; COMPUTE_PGM_RSRC2:TGID_Z_EN: 0
; COMPUTE_PGM_RSRC2:TIDIG_COMP_CNT: 0
	.text
	.protected	_Z26update_clustered_pnts_maskPcS_i ; -- Begin function _Z26update_clustered_pnts_maskPcS_i
	.globl	_Z26update_clustered_pnts_maskPcS_i
	.p2align	8
	.type	_Z26update_clustered_pnts_maskPcS_i,@function
_Z26update_clustered_pnts_maskPcS_i:    ; @_Z26update_clustered_pnts_maskPcS_i
; %bb.0:
	s_load_b32 s4, s[0:1], 0x10
	s_mov_b32 s5, exec_lo
	s_wait_kmcnt 0x0
	v_cmpx_gt_i32_e64 s4, v0
	s_cbranch_execz .LBB2_3
; %bb.1:
	s_clause 0x1
	s_load_b64 s[2:3], s[0:1], 0x24
	s_load_b128 s[8:11], s[0:1], 0x0
	v_mov_b32_e32 v1, 0
	s_mov_b32 s6, 0
	s_wait_kmcnt 0x0
	s_lshr_b32 s1, s2, 16
	s_and_b32 s2, s2, 0xffff
	v_add_nc_u64_e32 v[2:3], s[10:11], v[0:1]
	v_add_nc_u64_e32 v[4:5], s[8:9], v[0:1]
	s_and_b32 s0, s3, 0xffff
	s_mul_i32 s1, s1, s2
	s_mov_b64 s[2:3], 0
	s_mul_i32 s0, s1, s0
	s_delay_alu instid0(SALU_CYCLE_1)
	s_ashr_i32 s1, s0, 31
.LBB2_2:                                ; =>This Inner Loop Header: Depth=1
	v_add_nc_u64_e32 v[6:7], s[2:3], v[2:3]
	v_add_nc_u64_e32 v[8:9], s[2:3], v[4:5]
	s_add_nc_u64 s[2:3], s[2:3], s[0:1]
	global_load_u8 v1, v[6:7], off
	global_load_u8 v10, v[8:9], off
	s_wait_loadcnt 0x0
	s_wait_xcnt 0x1
	v_dual_add_nc_u32 v6, s2, v0 :: v_dual_bitop2_b32 v1, v10, v1 bitop3:0x54
	s_delay_alu instid0(VALU_DEP_1)
	v_cmp_le_i32_e32 vcc_lo, s4, v6
	global_store_b8 v[8:9], v1, off
	s_or_b32 s6, vcc_lo, s6
	s_wait_xcnt 0x0
	s_and_not1_b32 exec_lo, exec_lo, s6
	s_cbranch_execnz .LBB2_2
.LBB2_3:
	s_or_b32 exec_lo, exec_lo, s5
	s_wait_storecnt 0x0
	s_barrier_signal -1
	s_barrier_wait -1
	s_endpgm
	.section	.rodata,"a",@progbits
	.p2align	6, 0x0
	.amdhsa_kernel _Z26update_clustered_pnts_maskPcS_i
		.amdhsa_group_segment_fixed_size 0
		.amdhsa_private_segment_fixed_size 0
		.amdhsa_kernarg_size 280
		.amdhsa_user_sgpr_count 2
		.amdhsa_user_sgpr_dispatch_ptr 0
		.amdhsa_user_sgpr_queue_ptr 0
		.amdhsa_user_sgpr_kernarg_segment_ptr 1
		.amdhsa_user_sgpr_dispatch_id 0
		.amdhsa_user_sgpr_kernarg_preload_length 0
		.amdhsa_user_sgpr_kernarg_preload_offset 0
		.amdhsa_user_sgpr_private_segment_size 0
		.amdhsa_wavefront_size32 1
		.amdhsa_uses_dynamic_stack 0
		.amdhsa_enable_private_segment 0
		.amdhsa_system_sgpr_workgroup_id_x 1
		.amdhsa_system_sgpr_workgroup_id_y 0
		.amdhsa_system_sgpr_workgroup_id_z 0
		.amdhsa_system_sgpr_workgroup_info 0
		.amdhsa_system_vgpr_workitem_id 0
		.amdhsa_next_free_vgpr 11
		.amdhsa_next_free_sgpr 12
		.amdhsa_named_barrier_count 0
		.amdhsa_reserve_vcc 1
		.amdhsa_float_round_mode_32 0
		.amdhsa_float_round_mode_16_64 0
		.amdhsa_float_denorm_mode_32 3
		.amdhsa_float_denorm_mode_16_64 3
		.amdhsa_fp16_overflow 0
		.amdhsa_memory_ordered 1
		.amdhsa_forward_progress 1
		.amdhsa_inst_pref_size 2
		.amdhsa_round_robin_scheduling 0
		.amdhsa_exception_fp_ieee_invalid_op 0
		.amdhsa_exception_fp_denorm_src 0
		.amdhsa_exception_fp_ieee_div_zero 0
		.amdhsa_exception_fp_ieee_overflow 0
		.amdhsa_exception_fp_ieee_underflow 0
		.amdhsa_exception_fp_ieee_inexact 0
		.amdhsa_exception_int_div_zero 0
	.end_amdhsa_kernel
	.text
.Lfunc_end2:
	.size	_Z26update_clustered_pnts_maskPcS_i, .Lfunc_end2-_Z26update_clustered_pnts_maskPcS_i
                                        ; -- End function
	.set _Z26update_clustered_pnts_maskPcS_i.num_vgpr, 11
	.set _Z26update_clustered_pnts_maskPcS_i.num_agpr, 0
	.set _Z26update_clustered_pnts_maskPcS_i.numbered_sgpr, 12
	.set _Z26update_clustered_pnts_maskPcS_i.num_named_barrier, 0
	.set _Z26update_clustered_pnts_maskPcS_i.private_seg_size, 0
	.set _Z26update_clustered_pnts_maskPcS_i.uses_vcc, 1
	.set _Z26update_clustered_pnts_maskPcS_i.uses_flat_scratch, 0
	.set _Z26update_clustered_pnts_maskPcS_i.has_dyn_sized_stack, 0
	.set _Z26update_clustered_pnts_maskPcS_i.has_recursion, 0
	.set _Z26update_clustered_pnts_maskPcS_i.has_indirect_call, 0
	.section	.AMDGPU.csdata,"",@progbits
; Kernel info:
; codeLenInByte = 220
; TotalNumSgprs: 14
; NumVgprs: 11
; ScratchSize: 0
; MemoryBound: 0
; FloatMode: 240
; IeeeMode: 1
; LDSByteSize: 0 bytes/workgroup (compile time only)
; SGPRBlocks: 0
; VGPRBlocks: 0
; NumSGPRsForWavesPerEU: 14
; NumVGPRsForWavesPerEU: 11
; NamedBarCnt: 0
; Occupancy: 16
; WaveLimiterHint : 0
; COMPUTE_PGM_RSRC2:SCRATCH_EN: 0
; COMPUTE_PGM_RSRC2:USER_SGPR: 2
; COMPUTE_PGM_RSRC2:TRAP_HANDLER: 0
; COMPUTE_PGM_RSRC2:TGID_X_EN: 1
; COMPUTE_PGM_RSRC2:TGID_Y_EN: 0
; COMPUTE_PGM_RSRC2:TGID_Z_EN: 0
; COMPUTE_PGM_RSRC2:TIDIG_COMP_CNT: 0
	.text
	.p2align	2                               ; -- Begin function _Z42generate_candidate_cluster_compact_storageiiPcPfS_PiS0_iiiS1_f
	.type	_Z42generate_candidate_cluster_compact_storageiiPcPfS_PiS0_iiiS1_f,@function
_Z42generate_candidate_cluster_compact_storageiiPcPfS_PiS0_iiiS1_f: ; @_Z42generate_candidate_cluster_compact_storageiiPcPfS_PiS0_iiiS1_f
; %bb.0:
	s_wait_loadcnt_dscnt 0x0
	s_wait_kmcnt 0x0
	s_clause 0x1
	scratch_store_b32 off, v40, s32 offset:4
	; meta instruction
	scratch_store_b32 off, v41, s32
	s_bfe_u32 s0, ttmp6, 0x40010
	s_and_b32 s3, ttmp7, 0xffff
	s_add_co_i32 s0, s0, 1
	s_bfe_u32 s1, ttmp6, 0x40004
	s_mul_i32 s0, s3, s0
	s_bfe_u32 s2, ttmp6, 0x4000c
	s_add_co_i32 s4, s1, s0
	s_add_co_i32 s5, s2, 1
	s_load_b96 s[0:2], s[8:9], 0x0
	s_and_b32 s6, ttmp6, 15
	s_mul_i32 s5, ttmp9, s5
	s_getreg_b32 s7, hwreg(HW_REG_IB_STS2, 6, 4)
	s_add_co_i32 s6, s6, s5
	s_cmp_eq_u32 s7, 0
	v_and_b32_e32 v26, 0x3ff, v31
	s_cselect_b32 s5, ttmp9, s6
	s_cselect_b32 s3, s3, s4
	s_bfe_u32 s4, ttmp6, 0x40014
	s_lshr_b32 s6, ttmp7, 16
	s_add_co_i32 s4, s4, 1
	s_bfe_u32 s10, ttmp6, 0x40008
	s_mul_i32 s4, s6, s4
	v_dual_mov_b32 v19, v10 :: v_dual_mov_b32 v18, v9
	s_add_co_i32 s10, s10, s4
	s_cmp_eq_u32 s7, 0
	v_dual_mov_b32 v9, v8 :: v_dual_mov_b32 v8, v7
	s_cselect_b32 s6, s6, s10
	s_wait_kmcnt 0x0
	s_cmp_lt_u32 s3, s1
	v_dual_mov_b32 v21, v6 :: v_dual_mov_b32 v20, v5
	s_cselect_b32 s4, 14, 20
	s_cmp_lt_u32 s5, s0
	s_mov_b32 s5, 0
	s_cselect_b32 s0, 12, 18
	s_mov_b32 s1, s5
	s_cmp_lt_u32 s6, s2
	s_add_nc_u64 s[2:3], s[8:9], s[4:5]
	s_cselect_b32 s4, 16, 22
	s_add_nc_u64 s[0:1], s[8:9], s[0:1]
	s_add_nc_u64 s[4:5], s[8:9], s[4:5]
	s_clause 0x2
	s_load_u16 s6, s[0:1], 0x0
	s_load_u16 s7, s[2:3], 0x0
	;; [unrolled: 1-line block ×3, first 2 shown]
	v_dual_mov_b32 v23, v4 :: v_dual_mov_b32 v22, v3
	v_dual_mov_b32 v25, v2 :: v_dual_mov_b32 v24, v1
	s_mov_b32 s14, exec_lo
	s_wait_kmcnt 0x0
	s_mul_i32 s0, s7, s6
	s_delay_alu instid0(SALU_CYCLE_1) | instskip(NEXT) | instid1(SALU_CYCLE_1)
	s_mul_i32 s12, s0, s8
	s_cvt_f32_u32 s0, s12
	v_add_nc_u32_e32 v17, s12, v26
	s_delay_alu instid0(SALU_CYCLE_2)
	v_rcp_iflag_f32_e32 v10, s0
	v_cmpx_lt_i32_e64 v26, v12
	s_cbranch_execz .LBB3_8
; %bb.1:
	s_delay_alu instid0(TRANS32_DEP_1)
	v_readfirstlane_b32 s0, v10
	v_cmp_lt_i32_e32 vcc_lo, v17, v12
	v_max_i32_e32 v1, v12, v17
	s_sub_co_i32 s1, 0, s12
	s_mov_b32 s13, exec_lo
	s_mul_f32 s0, s0, 0x4f7ffffe
	v_add_co_ci_u32_e64 v2, null, s12, v26, vcc_lo
	s_delay_alu instid0(SALU_CYCLE_2) | instskip(SKIP_1) | instid1(SALU_CYCLE_2)
	s_cvt_u32_f32 s0, s0
	v_sub_nc_u32_e32 v1, v1, v2
	s_mul_i32 s1, s1, s0
	s_delay_alu instid0(SALU_CYCLE_1) | instskip(NEXT) | instid1(SALU_CYCLE_1)
	s_mul_hi_u32 s1, s0, s1
	s_add_co_i32 s0, s0, s1
	s_delay_alu instid0(VALU_DEP_1) | instid1(SALU_CYCLE_1)
	v_mul_hi_u32 v2, v1, s0
	s_delay_alu instid0(VALU_DEP_1) | instskip(NEXT) | instid1(VALU_DEP_1)
	v_mul_lo_u32 v3, v2, s12
	v_dual_sub_nc_u32 v1, v1, v3 :: v_dual_add_nc_u32 v3, 1, v2
	s_delay_alu instid0(VALU_DEP_1) | instskip(NEXT) | instid1(VALU_DEP_1)
	v_cmp_le_u32_e64 s0, s12, v1
	v_cndmask_b32_e64 v2, v2, v3, s0
	s_delay_alu instid0(VALU_DEP_1) | instskip(SKIP_1) | instid1(VALU_DEP_1)
	v_add_nc_u32_e32 v3, 1, v2
	v_subrev_nc_u32_e32 v4, s12, v1
	v_cndmask_b32_e64 v1, v1, v4, s0
	s_delay_alu instid0(VALU_DEP_1) | instskip(NEXT) | instid1(VALU_DEP_1)
	v_cmp_le_u32_e64 s0, s12, v1
	v_dual_cndmask_b32 v1, v2, v3, s0 :: v_dual_mov_b32 v2, 0
	s_mov_b32 s0, -1
	s_delay_alu instid0(VALU_DEP_1) | instskip(NEXT) | instid1(VALU_DEP_1)
	v_add_co_ci_u32_e64 v27, null, 1, v1, vcc_lo
	v_cmpx_lt_u32_e32 7, v27
	s_cbranch_execz .LBB3_5
; %bb.2:
	v_dual_mov_b32 v1, v26 :: v_dual_bitop2_b32 v28, -8, v27 bitop3:0x40
	v_dual_mov_b32 v2, v26 :: v_dual_mov_b32 v3, v26
	v_dual_mov_b32 v4, v26 :: v_dual_mov_b32 v5, v26
	;; [unrolled: 1-line block ×3, first 2 shown]
	s_mul_i32 s7, s12, 7
	s_mul_i32 s6, s12, 6
	v_dual_mov_b32 v30, v28 :: v_dual_mov_b32 v7, v26
	s_mul_i32 s5, s12, 5
	s_lshl_b32 s4, s12, 2
	s_mul_i32 s3, s12, 3
	s_lshl_b32 s2, s12, 1
	s_mov_b32 s0, 0
	s_lshl_b32 s15, s12, 3
	s_mov_b32 s1, s12
	s_mov_b64 s[10:11], s[6:7]
	s_mov_b32 s16, s15
	s_mov_b32 s17, s15
	;; [unrolled: 1-line block ×7, first 2 shown]
	s_mov_b64 s[8:9], s[4:5]
	s_mov_b64 s[6:7], s[2:3]
	;; [unrolled: 1-line block ×3, first 2 shown]
.LBB3_3:                                ; =>This Inner Loop Header: Depth=1
	s_delay_alu instid0(SALU_CYCLE_1) | instskip(SKIP_2) | instid1(VALU_DEP_3)
	v_dual_add_nc_u32 v32, s4, v26 :: v_dual_add_nc_u32 v34, s5, v1
	v_add_nc_u32_e32 v52, s10, v6
	v_dual_add_nc_u32 v36, s6, v2 :: v_dual_add_nc_u32 v38, s7, v3
	v_ashrrev_i32_e32 v33, 31, v32
	v_dual_add_nc_u32 v48, s8, v4 :: v_dual_add_nc_u32 v50, s9, v5
	s_delay_alu instid0(VALU_DEP_3) | instskip(NEXT) | instid1(VALU_DEP_3)
	v_dual_ashrrev_i32 v35, 31, v34 :: v_dual_ashrrev_i32 v37, 31, v36
	v_add_nc_u64_e32 v[32:33], v[24:25], v[32:33]
	s_delay_alu instid0(VALU_DEP_3) | instskip(NEXT) | instid1(VALU_DEP_4)
	v_dual_ashrrev_i32 v39, 31, v38 :: v_dual_ashrrev_i32 v49, 31, v48
	v_dual_ashrrev_i32 v51, 31, v50 :: v_dual_ashrrev_i32 v53, 31, v52
	s_delay_alu instid0(VALU_DEP_4)
	v_add_nc_u64_e32 v[34:35], v[24:25], v[34:35]
	v_add_nc_u64_e32 v[36:37], v[24:25], v[36:37]
	flat_store_b8 v[32:33], v29
	s_wait_xcnt 0x0
	v_dual_add_nc_u32 v32, s11, v7 :: v_dual_add_nc_u32 v30, -8, v30
	v_add_nc_u64_e32 v[38:39], v[24:25], v[38:39]
	v_add_nc_u64_e32 v[48:49], v[24:25], v[48:49]
	s_add_co_i32 s11, s11, s22
	s_delay_alu instid0(VALU_DEP_3)
	v_ashrrev_i32_e32 v33, 31, v32
	v_cmp_eq_u32_e32 vcc_lo, 0, v30
	s_add_co_i32 s10, s10, s21
	s_add_co_i32 s9, s9, s20
	;; [unrolled: 1-line block ×7, first 2 shown]
	v_add_nc_u64_e32 v[50:51], v[24:25], v[50:51]
	v_add_nc_u64_e32 v[52:53], v[24:25], v[52:53]
	s_or_b32 s0, vcc_lo, s0
	v_add_nc_u64_e32 v[32:33], v[24:25], v[32:33]
	s_clause 0x6
	flat_store_b8 v[34:35], v29
	flat_store_b8 v[36:37], v29
	;; [unrolled: 1-line block ×7, first 2 shown]
	s_wait_xcnt 0x0
	s_and_not1_b32 exec_lo, exec_lo, s0
	s_cbranch_execnz .LBB3_3
; %bb.4:
	s_or_b32 exec_lo, exec_lo, s0
	v_mul_lo_u32 v2, v28, s12
	v_cmp_ne_u32_e32 vcc_lo, v27, v28
	s_or_not1_b32 s0, vcc_lo, exec_lo
.LBB3_5:
	s_or_b32 exec_lo, exec_lo, s13
	s_delay_alu instid0(SALU_CYCLE_1)
	s_and_b32 exec_lo, exec_lo, s0
	s_cbranch_execz .LBB3_8
; %bb.6:
	s_delay_alu instid0(VALU_DEP_2) | instskip(SKIP_2) | instid1(VALU_DEP_1)
	v_dual_mov_b32 v27, 0 :: v_dual_ashrrev_i32 v3, 31, v2
	s_ashr_i32 s13, s12, 31
	s_mov_b32 s0, 0
	v_add_nc_u64_e32 v[4:5], v[24:25], v[26:27]
.LBB3_7:                                ; =>This Inner Loop Header: Depth=1
	s_delay_alu instid0(VALU_DEP_1) | instskip(SKIP_3) | instid1(VALU_DEP_1)
	v_add_nc_u64_e32 v[6:7], v[4:5], v[2:3]
	v_add_nc_u64_e32 v[2:3], s[12:13], v[2:3]
	flat_store_b8 v[6:7], v27
	v_add_nc_u32_e32 v1, v26, v2
	v_cmp_ge_i32_e32 vcc_lo, v1, v12
	s_or_b32 s0, vcc_lo, s0
	s_wait_xcnt 0x0
	s_and_not1_b32 exec_lo, exec_lo, s0
	s_cbranch_execnz .LBB3_7
.LBB3_8:
	s_or_b32 exec_lo, exec_lo, s14
	v_cmp_lt_i32_e32 vcc_lo, v26, v13
	s_and_saveexec_b32 s4, vcc_lo
	s_cbranch_execz .LBB3_16
; %bb.9:
	v_readfirstlane_b32 s0, v10
	v_max_i32_e32 v1, v13, v17
	s_sub_co_i32 s2, 0, s12
	s_mov_b32 s5, 0
	s_mul_f32 s1, s0, 0x4f7ffffe
	v_cmp_lt_i32_e64 s0, v17, v13
	s_delay_alu instid0(SALU_CYCLE_2) | instskip(SKIP_1) | instid1(SALU_CYCLE_2)
	s_cvt_u32_f32 s1, s1
	v_add_co_ci_u32_e64 v2, null, s12, v26, s0
	s_mul_i32 s2, s2, s1
	s_delay_alu instid0(SALU_CYCLE_1) | instskip(SKIP_3) | instid1(VALU_DEP_1)
	s_mul_hi_u32 s2, s1, s2
	v_sub_nc_u32_e32 v1, v1, v2
	s_add_co_i32 s1, s1, s2
	s_mov_b32 s2, -1
	v_mul_hi_u32 v2, v1, s1
	s_delay_alu instid0(VALU_DEP_1) | instskip(NEXT) | instid1(VALU_DEP_1)
	v_mul_lo_u32 v3, v2, s12
	v_dual_sub_nc_u32 v1, v1, v3 :: v_dual_add_nc_u32 v3, 1, v2
	s_delay_alu instid0(VALU_DEP_1) | instskip(NEXT) | instid1(VALU_DEP_1)
	v_cmp_le_u32_e64 s1, s12, v1
	v_cndmask_b32_e64 v2, v2, v3, s1
	s_delay_alu instid0(VALU_DEP_1) | instskip(SKIP_1) | instid1(VALU_DEP_1)
	v_add_nc_u32_e32 v3, 1, v2
	v_subrev_nc_u32_e32 v4, s12, v1
	v_cndmask_b32_e64 v1, v1, v4, s1
	s_delay_alu instid0(VALU_DEP_1) | instskip(NEXT) | instid1(VALU_DEP_1)
	v_cmp_le_u32_e64 s1, s12, v1
	v_dual_cndmask_b32 v1, v2, v3, s1 :: v_dual_mov_b32 v2, 0
	s_mov_b32 s1, exec_lo
	s_delay_alu instid0(VALU_DEP_1) | instskip(NEXT) | instid1(VALU_DEP_1)
	v_add_co_ci_u32_e64 v4, null, 1, v1, s0
	v_cmpx_lt_u32_e32 3, v4
	s_cbranch_execz .LBB3_13
; %bb.10:
	s_lshl_b32 s0, s12, 1
	v_dual_mov_b32 v1, v26 :: v_dual_mov_b32 v6, 0
	v_dual_add_nc_u32 v2, s0, v26 :: v_dual_bitop2_b32 v5, -4, v4 bitop3:0x40
	s_mov_b32 s13, s12
	s_add_co_i32 s6, s0, s0
	s_and_b64 s[2:3], s[12:13], 0xffffffff00000000
	s_delay_alu instid0(VALU_DEP_1)
	v_dual_mov_b32 v3, v2 :: v_dual_mov_b32 v7, v5
	s_mov_b32 s7, s6
.LBB3_11:                               ; =>This Inner Loop Header: Depth=1
	v_dual_add_nc_u32 v28, s2, v26 :: v_dual_add_nc_u32 v30, s3, v1
	s_delay_alu instid0(VALU_DEP_2) | instskip(NEXT) | instid1(VALU_DEP_2)
	v_dual_add_nc_u32 v32, s2, v2 :: v_dual_add_nc_u32 v34, s3, v3
	v_dual_add_nc_u32 v7, -4, v7 :: v_dual_ashrrev_i32 v29, 31, v28
	s_delay_alu instid0(VALU_DEP_2) | instskip(NEXT) | instid1(VALU_DEP_3)
	v_dual_ashrrev_i32 v31, 31, v30 :: v_dual_ashrrev_i32 v33, 31, v32
	v_ashrrev_i32_e32 v35, 31, v34
	s_delay_alu instid0(VALU_DEP_3) | instskip(NEXT) | instid1(VALU_DEP_4)
	v_cmp_eq_u32_e64 s0, 0, v7
	v_lshl_add_u64 v[28:29], v[28:29], 2, v[18:19]
	s_delay_alu instid0(VALU_DEP_4)
	v_lshl_add_u64 v[30:31], v[30:31], 2, v[18:19]
	s_add_co_i32 s3, s3, s7
	s_add_co_i32 s2, s2, s6
	v_lshl_add_u64 v[32:33], v[32:33], 2, v[18:19]
	v_lshl_add_u64 v[34:35], v[34:35], 2, v[18:19]
	s_or_b32 s5, s0, s5
	s_clause 0x3
	flat_store_b32 v[28:29], v6
	flat_store_b32 v[30:31], v6
	;; [unrolled: 1-line block ×4, first 2 shown]
	s_wait_xcnt 0x0
	s_and_not1_b32 exec_lo, exec_lo, s5
	s_cbranch_execnz .LBB3_11
; %bb.12:
	s_or_b32 exec_lo, exec_lo, s5
	v_mul_lo_u32 v2, v5, s12
	v_cmp_ne_u32_e64 s0, v4, v5
	s_or_not1_b32 s2, s0, exec_lo
.LBB3_13:
	s_or_b32 exec_lo, exec_lo, s1
	s_delay_alu instid0(SALU_CYCLE_1)
	s_and_b32 exec_lo, exec_lo, s2
	s_cbranch_execz .LBB3_16
; %bb.14:
	v_dual_ashrrev_i32 v3, 31, v2 :: v_dual_mov_b32 v27, 0
	v_add_nc_u32_e32 v1, v26, v2
	s_ashr_i32 s13, s12, 31
	s_mov_b32 s1, 0
	s_lshl_b64 s[2:3], s[12:13], 2
	v_add_nc_u64_e32 v[4:5], v[2:3], v[26:27]
	s_delay_alu instid0(VALU_DEP_1)
	v_lshl_add_u64 v[4:5], v[4:5], 2, v[18:19]
.LBB3_15:                               ; =>This Inner Loop Header: Depth=1
	v_add_nc_u32_e32 v1, s12, v1
	flat_store_b32 v[4:5], v27
	s_wait_xcnt 0x0
	v_add_nc_u64_e32 v[4:5], s[2:3], v[4:5]
	v_cmp_ge_i32_e64 s0, v1, v13
	s_or_b32 s1, s0, s1
	s_delay_alu instid0(SALU_CYCLE_1)
	s_and_not1_b32 exec_lo, exec_lo, s1
	s_cbranch_execnz .LBB3_15
.LBB3_16:
	s_or_b32 exec_lo, exec_lo, s4
	v_cmp_eq_u32_e64 s0, 0, v26
	s_and_saveexec_b32 s2, s0
	s_cbranch_execz .LBB3_20
; %bb.17:
	s_mov_b32 s3, exec_lo
	v_cmpx_ne_u64_e32 0, v[14:15]
	s_cbranch_execz .LBB3_19
; %bb.18:
	flat_store_b32 v[14:15], v0
.LBB3_19:
	s_wait_xcnt 0x0
	s_or_b32 exec_lo, exec_lo, s3
	v_ashrrev_i32_e32 v1, 31, v0
	s_delay_alu instid0(VALU_DEP_1)
	v_add_nc_u64_e32 v[2:3], v[24:25], v[0:1]
	v_mov_b32_e32 v1, 1
	flat_store_b8 v[2:3], v1
.LBB3_20:
	s_wait_xcnt 0x0
	s_or_b32 exec_lo, exec_lo, s2
	v_mul_lo_u32 v10, v13, v0
	v_dual_mov_b32 v112, -1 :: v_dual_mov_b32 v2, -1
	s_mov_b32 s2, 0
	s_wait_storecnt_dscnt 0x0
	s_barrier_signal -1
	s_barrier_wait -1
	s_and_saveexec_b32 s1, vcc_lo
	s_cbranch_execz .LBB3_22
; %bb.21:
	s_delay_alu instid0(VALU_DEP_2) | instskip(NEXT) | instid1(VALU_DEP_1)
	v_add_nc_u32_e32 v2, v10, v26
	v_ashrrev_i32_e32 v3, 31, v2
	s_delay_alu instid0(VALU_DEP_1)
	v_lshl_add_u64 v[2:3], v[2:3], 2, v[8:9]
	flat_load_b32 v2, v[2:3]
	s_wait_loadcnt_dscnt 0x0
	v_cmp_lt_i32_e32 vcc_lo, -1, v2
	s_and_b32 s2, vcc_lo, exec_lo
.LBB3_22:
	s_or_b32 exec_lo, exec_lo, s1
	v_dual_mov_b32 v102, -1 :: v_dual_mov_b32 v100, -1
	v_dual_mov_b32 v98, -1 :: v_dual_mov_b32 v96, -1
	;; [unrolled: 1-line block ×5, first 2 shown]
	s_and_saveexec_b32 s1, s2
	s_cbranch_execz .LBB3_66
; %bb.23:
	v_dual_mov_b32 v102, -1 :: v_dual_mov_b32 v112, -1
	s_mov_b32 s3, 0
	s_mov_b32 s2, exec_lo
	v_cmpx_lt_i32_e64 v17, v13
	s_cbranch_execz .LBB3_25
; %bb.24:
	v_add_nc_u32_e32 v4, v17, v10
	s_delay_alu instid0(VALU_DEP_1) | instskip(NEXT) | instid1(VALU_DEP_1)
	v_ashrrev_i32_e32 v5, 31, v4
	v_lshl_add_u64 v[4:5], v[4:5], 2, v[8:9]
	flat_load_b32 v112, v[4:5]
	s_wait_loadcnt_dscnt 0x0
	v_cmp_lt_i32_e32 vcc_lo, -1, v112
	s_and_b32 s3, vcc_lo, exec_lo
.LBB3_25:
	s_or_b32 exec_lo, exec_lo, s2
	v_dual_mov_b32 v100, -1 :: v_dual_mov_b32 v98, -1
	v_dual_mov_b32 v96, -1 :: v_dual_mov_b32 v86, -1
	;; [unrolled: 1-line block ×4, first 2 shown]
	v_mov_b32_e32 v4, -1
	s_and_saveexec_b32 s2, s3
	s_cbranch_execz .LBB3_65
; %bb.26:
	v_dual_mov_b32 v100, -1 :: v_dual_add_nc_u32 v1, s12, v17
	v_mov_b32_e32 v102, -1
	s_mov_b32 s4, 0
	s_mov_b32 s3, exec_lo
	s_delay_alu instid0(VALU_DEP_2)
	v_cmpx_lt_i32_e64 v1, v13
	s_cbranch_execz .LBB3_28
; %bb.27:
	v_add_nc_u32_e32 v4, v1, v10
	s_delay_alu instid0(VALU_DEP_1) | instskip(NEXT) | instid1(VALU_DEP_1)
	v_ashrrev_i32_e32 v5, 31, v4
	v_lshl_add_u64 v[4:5], v[4:5], 2, v[8:9]
	flat_load_b32 v102, v[4:5]
	s_wait_loadcnt_dscnt 0x0
	v_cmp_lt_i32_e32 vcc_lo, -1, v102
	s_and_b32 s4, vcc_lo, exec_lo
.LBB3_28:
	s_or_b32 exec_lo, exec_lo, s3
	v_dual_mov_b32 v98, -1 :: v_dual_mov_b32 v96, -1
	v_dual_mov_b32 v86, -1 :: v_dual_mov_b32 v82, -1
	;; [unrolled: 1-line block ×4, first 2 shown]
	s_and_saveexec_b32 s3, s4
	s_cbranch_execz .LBB3_64
; %bb.29:
	v_dual_mov_b32 v98, -1 :: v_dual_add_nc_u32 v1, s12, v1
	v_mov_b32_e32 v100, -1
	s_mov_b32 s5, 0
	s_mov_b32 s4, exec_lo
	s_delay_alu instid0(VALU_DEP_2)
	v_cmpx_lt_i32_e64 v1, v13
	s_cbranch_execz .LBB3_31
; %bb.30:
	v_add_nc_u32_e32 v4, v1, v10
	s_delay_alu instid0(VALU_DEP_1) | instskip(NEXT) | instid1(VALU_DEP_1)
	v_ashrrev_i32_e32 v5, 31, v4
	v_lshl_add_u64 v[4:5], v[4:5], 2, v[8:9]
	flat_load_b32 v100, v[4:5]
	s_wait_loadcnt_dscnt 0x0
	v_cmp_lt_i32_e32 vcc_lo, -1, v100
	s_and_b32 s5, vcc_lo, exec_lo
.LBB3_31:
	s_or_b32 exec_lo, exec_lo, s4
	v_dual_mov_b32 v96, -1 :: v_dual_mov_b32 v86, -1
	v_dual_mov_b32 v82, -1 :: v_dual_mov_b32 v80, -1
	;; [unrolled: 1-line block ×3, first 2 shown]
	v_mov_b32_e32 v4, -1
	s_and_saveexec_b32 s4, s5
	s_cbranch_execz .LBB3_63
; %bb.32:
	v_dual_mov_b32 v96, -1 :: v_dual_add_nc_u32 v1, s12, v1
	v_mov_b32_e32 v98, -1
	s_mov_b32 s6, 0
	s_mov_b32 s5, exec_lo
	s_delay_alu instid0(VALU_DEP_2)
	v_cmpx_lt_i32_e64 v1, v13
	s_cbranch_execz .LBB3_34
; %bb.33:
	v_add_nc_u32_e32 v4, v1, v10
	s_delay_alu instid0(VALU_DEP_1) | instskip(NEXT) | instid1(VALU_DEP_1)
	v_ashrrev_i32_e32 v5, 31, v4
	v_lshl_add_u64 v[4:5], v[4:5], 2, v[8:9]
	flat_load_b32 v98, v[4:5]
	s_wait_loadcnt_dscnt 0x0
	v_cmp_lt_i32_e32 vcc_lo, -1, v98
	s_and_b32 s6, vcc_lo, exec_lo
.LBB3_34:
	s_or_b32 exec_lo, exec_lo, s5
	v_dual_mov_b32 v86, -1 :: v_dual_mov_b32 v82, -1
	v_dual_mov_b32 v80, -1 :: v_dual_mov_b32 v70, -1
	;; [unrolled: 1-line block ×3, first 2 shown]
	s_and_saveexec_b32 s5, s6
	s_cbranch_execz .LBB3_62
; %bb.35:
	v_dual_mov_b32 v86, -1 :: v_dual_add_nc_u32 v1, s12, v1
	v_mov_b32_e32 v96, -1
	s_mov_b32 s7, 0
	s_mov_b32 s6, exec_lo
	s_delay_alu instid0(VALU_DEP_2)
	v_cmpx_lt_i32_e64 v1, v13
	s_cbranch_execz .LBB3_37
; %bb.36:
	v_add_nc_u32_e32 v4, v1, v10
	s_delay_alu instid0(VALU_DEP_1) | instskip(NEXT) | instid1(VALU_DEP_1)
	v_ashrrev_i32_e32 v5, 31, v4
	v_lshl_add_u64 v[4:5], v[4:5], 2, v[8:9]
	flat_load_b32 v96, v[4:5]
	s_wait_loadcnt_dscnt 0x0
	v_cmp_lt_i32_e32 vcc_lo, -1, v96
	s_and_b32 s7, vcc_lo, exec_lo
.LBB3_37:
	s_or_b32 exec_lo, exec_lo, s6
	v_dual_mov_b32 v82, -1 :: v_dual_mov_b32 v80, -1
	v_dual_mov_b32 v70, -1 :: v_dual_mov_b32 v6, -1
	v_mov_b32_e32 v4, -1
	s_and_saveexec_b32 s6, s7
	s_cbranch_execz .LBB3_61
; %bb.38:
	v_dual_mov_b32 v82, -1 :: v_dual_add_nc_u32 v1, s12, v1
	v_mov_b32_e32 v86, -1
	s_mov_b32 s8, 0
	s_mov_b32 s7, exec_lo
	s_delay_alu instid0(VALU_DEP_2)
	v_cmpx_lt_i32_e64 v1, v13
	s_cbranch_execz .LBB3_40
; %bb.39:
	v_add_nc_u32_e32 v4, v1, v10
	s_delay_alu instid0(VALU_DEP_1) | instskip(NEXT) | instid1(VALU_DEP_1)
	v_ashrrev_i32_e32 v5, 31, v4
	v_lshl_add_u64 v[4:5], v[4:5], 2, v[8:9]
	flat_load_b32 v86, v[4:5]
	s_wait_loadcnt_dscnt 0x0
	v_cmp_lt_i32_e32 vcc_lo, -1, v86
	s_and_b32 s8, vcc_lo, exec_lo
.LBB3_40:
	s_or_b32 exec_lo, exec_lo, s7
	v_dual_mov_b32 v80, -1 :: v_dual_mov_b32 v70, -1
	v_dual_mov_b32 v6, -1 :: v_dual_mov_b32 v4, -1
	s_and_saveexec_b32 s7, s8
	s_cbranch_execz .LBB3_60
; %bb.41:
	v_dual_mov_b32 v80, -1 :: v_dual_add_nc_u32 v1, s12, v1
	v_mov_b32_e32 v82, -1
	s_mov_b32 s9, 0
	s_mov_b32 s8, exec_lo
	s_delay_alu instid0(VALU_DEP_2)
	v_cmpx_lt_i32_e64 v1, v13
	s_cbranch_execz .LBB3_43
; %bb.42:
	v_add_nc_u32_e32 v4, v1, v10
	s_delay_alu instid0(VALU_DEP_1) | instskip(NEXT) | instid1(VALU_DEP_1)
	v_ashrrev_i32_e32 v5, 31, v4
	v_lshl_add_u64 v[4:5], v[4:5], 2, v[8:9]
	flat_load_b32 v82, v[4:5]
	s_wait_loadcnt_dscnt 0x0
	v_cmp_lt_i32_e32 vcc_lo, -1, v82
	s_and_b32 s9, vcc_lo, exec_lo
.LBB3_43:
	s_or_b32 exec_lo, exec_lo, s8
	v_dual_mov_b32 v70, -1 :: v_dual_mov_b32 v6, -1
	v_mov_b32_e32 v4, -1
	s_and_saveexec_b32 s8, s9
	s_cbranch_execz .LBB3_59
; %bb.44:
	v_dual_mov_b32 v70, -1 :: v_dual_add_nc_u32 v1, s12, v1
	v_mov_b32_e32 v80, -1
	s_mov_b32 s10, 0
	s_mov_b32 s9, exec_lo
	s_delay_alu instid0(VALU_DEP_2)
	v_cmpx_lt_i32_e64 v1, v13
	s_cbranch_execz .LBB3_46
; %bb.45:
	v_add_nc_u32_e32 v4, v1, v10
	s_delay_alu instid0(VALU_DEP_1) | instskip(NEXT) | instid1(VALU_DEP_1)
	v_ashrrev_i32_e32 v5, 31, v4
	v_lshl_add_u64 v[4:5], v[4:5], 2, v[8:9]
	flat_load_b32 v80, v[4:5]
	s_wait_loadcnt_dscnt 0x0
	v_cmp_lt_i32_e32 vcc_lo, -1, v80
	s_and_b32 s10, vcc_lo, exec_lo
.LBB3_46:
	s_or_b32 exec_lo, exec_lo, s9
	v_dual_mov_b32 v6, -1 :: v_dual_mov_b32 v4, -1
	s_and_saveexec_b32 s9, s10
	s_cbranch_execz .LBB3_58
; %bb.47:
	v_dual_mov_b32 v6, -1 :: v_dual_add_nc_u32 v1, s12, v1
	v_mov_b32_e32 v70, -1
	s_mov_b32 s11, 0
	s_mov_b32 s10, exec_lo
	s_delay_alu instid0(VALU_DEP_2)
	v_cmpx_lt_i32_e64 v1, v13
	s_cbranch_execz .LBB3_49
; %bb.48:
	v_add_nc_u32_e32 v4, v1, v10
	s_delay_alu instid0(VALU_DEP_1) | instskip(NEXT) | instid1(VALU_DEP_1)
	v_ashrrev_i32_e32 v5, 31, v4
	v_lshl_add_u64 v[4:5], v[4:5], 2, v[8:9]
	flat_load_b32 v70, v[4:5]
	s_wait_loadcnt_dscnt 0x0
	v_cmp_lt_i32_e32 vcc_lo, -1, v70
	s_and_b32 s11, vcc_lo, exec_lo
.LBB3_49:
	s_or_b32 exec_lo, exec_lo, s10
	v_mov_b32_e32 v4, -1
	s_and_saveexec_b32 s10, s11
	s_cbranch_execz .LBB3_57
; %bb.50:
	v_dual_mov_b32 v4, -1 :: v_dual_add_nc_u32 v1, s12, v1
	v_mov_b32_e32 v6, -1
	s_mov_b32 s13, 0
	s_mov_b32 s11, exec_lo
	s_delay_alu instid0(VALU_DEP_2)
	v_cmpx_lt_i32_e64 v1, v13
	s_cbranch_execz .LBB3_52
; %bb.51:
	v_add_nc_u32_e32 v6, v1, v10
	s_delay_alu instid0(VALU_DEP_1) | instskip(NEXT) | instid1(VALU_DEP_1)
	v_ashrrev_i32_e32 v7, 31, v6
	v_lshl_add_u64 v[6:7], v[6:7], 2, v[8:9]
	flat_load_b32 v6, v[6:7]
	s_wait_loadcnt_dscnt 0x0
	v_cmp_lt_i32_e32 vcc_lo, -1, v6
	s_and_b32 s13, vcc_lo, exec_lo
.LBB3_52:
	s_or_b32 exec_lo, exec_lo, s11
	s_and_saveexec_b32 s11, s13
	s_cbranch_execz .LBB3_56
; %bb.53:
	v_dual_mov_b32 v4, -1 :: v_dual_add_nc_u32 v1, s12, v1
	s_mov_b32 s13, exec_lo
	s_delay_alu instid0(VALU_DEP_1)
	v_cmpx_lt_i32_e64 v1, v13
	s_cbranch_execz .LBB3_55
; %bb.54:
	v_add_nc_u32_e32 v4, v1, v10
	s_delay_alu instid0(VALU_DEP_1) | instskip(NEXT) | instid1(VALU_DEP_1)
	v_ashrrev_i32_e32 v5, 31, v4
	v_lshl_add_u64 v[4:5], v[4:5], 2, v[8:9]
	flat_load_b32 v4, v[4:5]
.LBB3_55:
	s_wait_xcnt 0x0
	s_or_b32 exec_lo, exec_lo, s13
.LBB3_56:
	s_delay_alu instid0(SALU_CYCLE_1)
	s_or_b32 exec_lo, exec_lo, s11
.LBB3_57:
	s_delay_alu instid0(SALU_CYCLE_1)
	s_or_b32 exec_lo, exec_lo, s10
.LBB3_58:
	s_delay_alu instid0(SALU_CYCLE_1)
	s_or_b32 exec_lo, exec_lo, s9
.LBB3_59:
	s_delay_alu instid0(SALU_CYCLE_1)
	s_or_b32 exec_lo, exec_lo, s8
.LBB3_60:
	s_delay_alu instid0(SALU_CYCLE_1)
	s_or_b32 exec_lo, exec_lo, s7
.LBB3_61:
	s_delay_alu instid0(SALU_CYCLE_1)
	s_or_b32 exec_lo, exec_lo, s6
.LBB3_62:
	s_delay_alu instid0(SALU_CYCLE_1)
	s_or_b32 exec_lo, exec_lo, s5
.LBB3_63:
	s_delay_alu instid0(SALU_CYCLE_1)
	s_or_b32 exec_lo, exec_lo, s4
.LBB3_64:
	s_delay_alu instid0(SALU_CYCLE_1)
	s_or_b32 exec_lo, exec_lo, s3
.LBB3_65:
	s_delay_alu instid0(SALU_CYCLE_1)
	s_or_b32 exec_lo, exec_lo, s2
.LBB3_66:
	s_delay_alu instid0(SALU_CYCLE_1)
	s_or_b32 exec_lo, exec_lo, s1
	v_mov_b32_e32 v1, 1
	s_mov_b32 s5, exec_lo
	s_wait_loadcnt_dscnt 0x0
	s_barrier_signal -1
	s_barrier_wait -1
	v_cmpx_lt_i32_e32 1, v11
	s_cbranch_execz .LBB3_390
; %bb.67:
	v_add3_u32 v32, s12, s12, v26
	v_dual_mul_f32 v12, 0x40400000, v16 :: v_dual_mov_b32 v3, 0
	s_ashr_i32 s13, s12, 31
	s_cmp_gt_i32 s12, 1
	s_delay_alu instid0(VALU_DEP_2) | instskip(NEXT) | instid1(VALU_DEP_2)
	v_dual_add_nc_u32 v34, s12, v32 :: v_dual_lshlrev_b32 v28, 2, v26
	v_dual_add_f32 v17, 1.0, v16 :: v_dual_mov_b32 v29, v3
	s_delay_alu instid0(VALU_DEP_2) | instskip(SKIP_2) | instid1(VALU_DEP_3)
	v_dual_ashrrev_i32 v33, 31, v32 :: v_dual_add_nc_u32 v38, s12, v34
	v_mov_b32_e32 v27, -1
	s_cselect_b32 s9, -1, 0
	v_add_nc_u64_e32 v[30:31], v[18:19], v[28:29]
	s_add_co_i32 s3, s12, -1
	v_dual_mov_b32 v5, 1 :: v_dual_add_nc_u32 v48, s12, v38
	s_add_co_i32 s4, s12, -2
	s_and_b32 s10, s3, 3
	v_cmp_ne_u64_e64 s2, 0, v[14:15]
	s_delay_alu instid0(VALU_DEP_2) | instskip(SKIP_3) | instid1(VALU_DEP_3)
	v_add_nc_u32_e32 v50, s12, v48
	s_cmp_gt_u32 s4, 2
	v_cmp_lt_i32_e64 s1, 0, v13
	v_dual_mov_b32 v40, v0 :: v_dual_add_nc_u32 v7, 0x100, v28
	v_dual_add_nc_u32 v52, s12, v50 :: v_dual_ashrrev_i32 v49, 31, v48
	v_ashrrev_i32_e32 v35, 31, v34
	s_cselect_b32 s11, -1, 0
	s_and_b32 s14, s3, -4
	s_delay_alu instid0(VALU_DEP_2)
	v_add_nc_u32_e32 v54, s12, v52
	v_lshl_add_u64 v[32:33], v[32:33], 2, v[18:19]
	v_lshl_add_u64 v[34:35], v[34:35], 2, v[18:19]
	;; [unrolled: 1-line block ×4, first 2 shown]
	v_dual_add_nc_u32 v64, s12, v54 :: v_dual_ashrrev_i32 v53, 31, v52
	v_ashrrev_i32_e32 v39, 31, v38
	v_ashrrev_i32_e32 v51, 31, v50
	s_cmp_lg_u32 s10, 0
	s_delay_alu instid0(VALU_DEP_3) | instskip(NEXT) | instid1(VALU_DEP_3)
	v_dual_add_nc_u32 v66, s12, v64 :: v_dual_ashrrev_i32 v65, 31, v64
	v_lshl_add_u64 v[38:39], v[38:39], 2, v[18:19]
	s_delay_alu instid0(VALU_DEP_3) | instskip(SKIP_1) | instid1(VALU_DEP_4)
	v_lshl_add_u64 v[50:51], v[50:51], 2, v[18:19]
	v_lshl_add_u64 v[52:53], v[52:53], 2, v[18:19]
	v_dual_add_nc_u32 v68, s12, v66 :: v_dual_ashrrev_i32 v67, 31, v66
	v_ashrrev_i32_e32 v55, 31, v54
	v_lshl_add_u64 v[64:65], v[64:65], 2, v[18:19]
	s_mov_b32 s8, 0
	s_delay_alu instid0(VALU_DEP_3) | instskip(NEXT) | instid1(VALU_DEP_3)
	v_dual_ashrrev_i32 v69, 31, v68 :: v_dual_add_nc_u32 v29, s12, v68
	v_lshl_add_u64 v[54:55], v[54:55], 2, v[18:19]
	v_lshl_add_u64 v[66:67], v[66:67], 2, v[18:19]
	s_mov_b32 s6, 1
	s_delay_alu instid0(VALU_DEP_3)
	v_lshl_add_u64 v[68:69], v[68:69], 2, v[18:19]
	v_cmp_lt_i32_e64 s3, v29, v13
	s_cselect_b32 s13, -1, 0
	s_branch .LBB3_70
.LBB3_68:                               ;   in Loop: Header=BB3_70 Depth=1
	s_wait_xcnt 0x0
	s_or_b32 exec_lo, exec_lo, s15
	s_add_co_i32 s6, s6, 1
.LBB3_69:                               ;   in Loop: Header=BB3_70 Depth=1
	s_delay_alu instid0(SALU_CYCLE_1) | instskip(SKIP_1) | instid1(VALU_DEP_2)
	v_cmp_ge_i32_e32 vcc_lo, s6, v11
	s_xor_b32 s4, s4, -1
	v_dual_mov_b32 v1, s6 :: v_dual_mov_b32 v40, v2
	v_mov_b32_e32 v2, v71
	s_or_b32 s4, vcc_lo, s4
	s_wait_storecnt_dscnt 0x0
	s_and_b32 s4, exec_lo, s4
	s_barrier_signal -1
	s_or_b32 s8, s4, s8
	s_barrier_wait -1
	s_and_not1_b32 exec_lo, exec_lo, s8
	s_cbranch_execz .LBB3_389
.LBB3_70:                               ; =>This Loop Header: Depth=1
                                        ;     Child Loop BB3_79 Depth 2
                                        ;     Child Loop BB3_98 Depth 2
                                        ;     Child Loop BB3_117 Depth 2
                                        ;     Child Loop BB3_136 Depth 2
                                        ;     Child Loop BB3_155 Depth 2
                                        ;     Child Loop BB3_174 Depth 2
                                        ;     Child Loop BB3_193 Depth 2
                                        ;     Child Loop BB3_212 Depth 2
                                        ;     Child Loop BB3_231 Depth 2
                                        ;     Child Loop BB3_250 Depth 2
                                        ;     Child Loop BB3_269 Depth 2
                                        ;     Child Loop BB3_287 Depth 2
                                        ;     Child Loop BB3_316 Depth 2
                                        ;       Child Loop BB3_325 Depth 3
                                        ;     Child Loop BB3_336 Depth 2
                                        ;     Child Loop BB3_374 Depth 2
	v_mul_lo_u32 v84, v40, v13
	v_dual_mov_b32 v85, -1 :: v_dual_mov_b32 v1, v12
	v_mov_b32_e32 v41, v3
	s_mov_b32 s7, exec_lo
	v_cmpx_lt_i32_e32 -1, v2
	s_cbranch_execz .LBB3_308
; %bb.71:                               ;   in Loop: Header=BB3_70 Depth=1
	v_dual_mov_b32 v85, -1 :: v_dual_mov_b32 v41, 0
	v_dual_mov_b32 v1, v12 :: v_dual_mov_b32 v118, v0
	s_mov_b32 s4, exec_lo
	v_cmpx_ne_u32_e64 v2, v0
	s_cbranch_execz .LBB3_89
; %bb.72:                               ;   in Loop: Header=BB3_70 Depth=1
	flat_load_b32 v71, v[30:31]
	v_dual_mov_b32 v41, 0 :: v_dual_mov_b32 v85, -1
	v_dual_mov_b32 v118, v0 :: v_dual_mov_b32 v1, v12
	s_mov_b32 s15, exec_lo
	s_wait_loadcnt_dscnt 0x0
	v_cmpx_ngt_f32_e32 v71, v16
	s_cbranch_execz .LBB3_88
; %bb.73:                               ;   in Loop: Header=BB3_70 Depth=1
	v_add_nc_u64_e32 v[114:115], v[24:25], v[2:3]
	v_dual_mov_b32 v41, 0 :: v_dual_mov_b32 v85, -1
	v_mov_b32_e32 v118, v0
	flat_load_u8 v1, v[114:115]
	s_wait_loadcnt_dscnt 0x0
	v_cmp_eq_u16_e32 vcc_lo, 0, v1
	v_mov_b32_e32 v1, v12
	s_and_saveexec_b32 s16, vcc_lo
	s_cbranch_execz .LBB3_87
; %bb.74:                               ;   in Loop: Header=BB3_70 Depth=1
	v_add_nc_u64_e32 v[114:115], v[20:21], v[2:3]
	v_dual_mov_b32 v41, 0 :: v_dual_mov_b32 v85, -1
	v_mov_b32_e32 v118, v0
	flat_load_u8 v1, v[114:115]
	s_wait_loadcnt_dscnt 0x0
	v_cmp_eq_u16_e32 vcc_lo, 0, v1
	v_mov_b32_e32 v1, v12
	s_and_saveexec_b32 s17, vcc_lo
	s_cbranch_execz .LBB3_86
; %bb.75:                               ;   in Loop: Header=BB3_70 Depth=1
	v_dual_mov_b32 v41, 0 :: v_dual_mov_b32 v1, v17
	s_and_saveexec_b32 s18, s1
	s_cbranch_execz .LBB3_83
; %bb.76:                               ;   in Loop: Header=BB3_70 Depth=1
	v_dual_ashrrev_i32 v85, 31, v84 :: v_dual_mov_b32 v81, 0
	v_mov_b32_e32 v1, v17
	s_mov_b32 s20, 1
	s_mov_b32 s19, 0
	s_delay_alu instid0(VALU_DEP_2) | instskip(NEXT) | instid1(VALU_DEP_1)
	v_lshlrev_b64_e32 v[116:117], 2, v[84:85]
                                        ; implicit-def: $sgpr21
	v_add_nc_u64_e32 v[114:115], v[22:23], v[116:117]
	v_add_nc_u64_e32 v[116:117], v[8:9], v[116:117]
	s_branch .LBB3_79
.LBB3_77:                               ;   in Loop: Header=BB3_79 Depth=2
	s_wait_xcnt 0x0
	s_or_b32 exec_lo, exec_lo, s24
	v_mov_b32_e32 v41, v81
	s_and_not1_b32 s21, s21, exec_lo
	s_and_b32 s23, s23, exec_lo
	s_delay_alu instid0(SALU_CYCLE_1)
	s_or_b32 s21, s21, s23
.LBB3_78:                               ;   in Loop: Header=BB3_79 Depth=2
	s_or_b32 exec_lo, exec_lo, s22
	v_cmp_ge_i32_e32 vcc_lo, s20, v13
	s_xor_b32 s22, s21, -1
	v_add_nc_u64_e32 v[114:115], 4, v[114:115]
	v_add_nc_u64_e32 v[116:117], 4, v[116:117]
	s_add_co_i32 s20, s20, 1
	s_or_b32 s22, s22, vcc_lo
	v_mov_b32_e32 v81, v41
	s_and_b32 s22, exec_lo, s22
	s_delay_alu instid0(SALU_CYCLE_1) | instskip(NEXT) | instid1(SALU_CYCLE_1)
	s_or_b32 s19, s22, s19
	s_and_not1_b32 exec_lo, exec_lo, s19
	s_cbranch_execz .LBB3_82
.LBB3_79:                               ;   Parent Loop BB3_70 Depth=1
                                        ; =>  This Inner Loop Header: Depth=2
	flat_load_b32 v83, v[116:117]
	s_add_co_i32 s22, s20, -1
	s_and_not1_b32 s21, s21, exec_lo
	v_mov_b32_e32 v41, s22
	s_mov_b32 s22, exec_lo
	s_wait_loadcnt_dscnt 0x0
	s_wait_xcnt 0x0
	v_cmpx_le_u32_e64 v83, v2
	s_cbranch_execz .LBB3_78
; %bb.80:                               ;   in Loop: Header=BB3_79 Depth=2
	s_mov_b32 s23, -1
	s_mov_b32 s24, exec_lo
	v_cmpx_eq_u32_e64 v83, v2
	s_cbranch_execz .LBB3_77
; %bb.81:                               ;   in Loop: Header=BB3_79 Depth=2
	flat_load_b32 v1, v[114:115]
	s_xor_b32 s23, exec_lo, -1
	s_branch .LBB3_77
.LBB3_82:                               ;   in Loop: Header=BB3_70 Depth=1
	s_or_b32 exec_lo, exec_lo, s19
.LBB3_83:                               ;   in Loop: Header=BB3_70 Depth=1
	s_delay_alu instid0(SALU_CYCLE_1) | instskip(NEXT) | instid1(SALU_CYCLE_1)
	s_or_b32 exec_lo, exec_lo, s18
	s_mov_b32 s18, exec_lo
	s_wait_loadcnt_dscnt 0x0
	v_cmpx_gt_f32_e32 v1, v71
	s_cbranch_execz .LBB3_85
; %bb.84:                               ;   in Loop: Header=BB3_70 Depth=1
	v_mov_b32_e32 v71, v1
	flat_store_b32 v[30:31], v1
.LBB3_85:                               ;   in Loop: Header=BB3_70 Depth=1
	s_wait_xcnt 0x0
	s_or_b32 exec_lo, exec_lo, s18
	v_cmp_lt_f32_e32 vcc_lo, v71, v12
	v_dual_mov_b32 v118, v2 :: v_dual_cndmask_b32 v1, v12, v71
	v_cndmask_b32_e32 v85, -1, v2, vcc_lo
.LBB3_86:                               ;   in Loop: Header=BB3_70 Depth=1
	s_or_b32 exec_lo, exec_lo, s17
.LBB3_87:                               ;   in Loop: Header=BB3_70 Depth=1
	s_delay_alu instid0(SALU_CYCLE_1)
	s_or_b32 exec_lo, exec_lo, s16
.LBB3_88:                               ;   in Loop: Header=BB3_70 Depth=1
	s_delay_alu instid0(SALU_CYCLE_1)
	s_or_b32 exec_lo, exec_lo, s15
.LBB3_89:                               ;   in Loop: Header=BB3_70 Depth=1
	s_delay_alu instid0(SALU_CYCLE_1) | instskip(NEXT) | instid1(SALU_CYCLE_1)
	s_or_b32 exec_lo, exec_lo, s4
	s_mov_b32 s15, exec_lo
	v_cmpx_lt_i32_e32 -1, v112
	s_cbranch_execz .LBB3_307
; %bb.90:                               ;   in Loop: Header=BB3_70 Depth=1
	v_mov_b32_e32 v2, v0
	s_mov_b32 s4, exec_lo
	v_cmpx_ne_u32_e64 v112, v0
	s_cbranch_execz .LBB3_108
; %bb.91:                               ;   in Loop: Header=BB3_70 Depth=1
	flat_load_b32 v71, v[36:37]
	v_mov_b32_e32 v2, v0
	s_mov_b32 s16, exec_lo
	s_wait_loadcnt_dscnt 0x0
	v_cmpx_ngt_f32_e32 v71, v16
	s_cbranch_execz .LBB3_107
; %bb.92:                               ;   in Loop: Header=BB3_70 Depth=1
	v_mov_b32_e32 v113, v3
	s_delay_alu instid0(VALU_DEP_1)
	v_add_nc_u64_e32 v[114:115], v[24:25], v[112:113]
	flat_load_u8 v2, v[114:115]
	s_wait_loadcnt_dscnt 0x0
	v_cmp_eq_u16_e32 vcc_lo, 0, v2
	v_mov_b32_e32 v2, v0
	s_wait_xcnt 0x0
	s_and_saveexec_b32 s17, vcc_lo
	s_cbranch_execz .LBB3_106
; %bb.93:                               ;   in Loop: Header=BB3_70 Depth=1
	v_add_nc_u64_e32 v[114:115], v[20:21], v[112:113]
	flat_load_u8 v2, v[114:115]
	s_wait_loadcnt_dscnt 0x0
	v_cmp_eq_u16_e32 vcc_lo, 0, v2
	v_mov_b32_e32 v2, v0
	s_wait_xcnt 0x0
	s_and_saveexec_b32 s18, vcc_lo
	s_cbranch_execz .LBB3_105
; %bb.94:                               ;   in Loop: Header=BB3_70 Depth=1
	v_mov_b32_e32 v2, v17
	s_mov_b32 s19, exec_lo
	v_cmpx_lt_i32_e64 v41, v13
	s_cbranch_execz .LBB3_102
; %bb.95:                               ;   in Loop: Header=BB3_70 Depth=1
	v_dual_mov_b32 v81, v41 :: v_dual_add_nc_u32 v114, v41, v84
	s_mov_b32 s20, 0
                                        ; implicit-def: $sgpr21
	s_delay_alu instid0(VALU_DEP_1) | instskip(NEXT) | instid1(VALU_DEP_1)
	v_dual_mov_b32 v2, v17 :: v_dual_ashrrev_i32 v115, 31, v114
	v_lshlrev_b64_e32 v[116:117], 2, v[114:115]
	s_delay_alu instid0(VALU_DEP_1)
	v_add_nc_u64_e32 v[114:115], v[22:23], v[116:117]
	v_add_nc_u64_e32 v[116:117], v[8:9], v[116:117]
	s_branch .LBB3_98
.LBB3_96:                               ;   in Loop: Header=BB3_98 Depth=2
	s_wait_xcnt 0x0
	s_or_b32 exec_lo, exec_lo, s24
	v_mov_b32_e32 v83, v41
	s_and_not1_b32 s21, s21, exec_lo
	s_and_b32 s23, s23, exec_lo
	s_delay_alu instid0(SALU_CYCLE_1)
	s_or_b32 s21, s21, s23
.LBB3_97:                               ;   in Loop: Header=BB3_98 Depth=2
	s_or_b32 exec_lo, exec_lo, s22
	v_dual_add_nc_u32 v81, 1, v81 :: v_dual_mov_b32 v41, v83
	s_xor_b32 s22, s21, -1
	v_add_nc_u64_e32 v[114:115], 4, v[114:115]
	v_add_nc_u64_e32 v[116:117], 4, v[116:117]
	s_delay_alu instid0(VALU_DEP_3) | instskip(SKIP_1) | instid1(SALU_CYCLE_1)
	v_cmp_ge_i32_e32 vcc_lo, v81, v13
	s_or_b32 s22, s22, vcc_lo
	s_and_b32 s22, exec_lo, s22
	s_delay_alu instid0(SALU_CYCLE_1) | instskip(NEXT) | instid1(SALU_CYCLE_1)
	s_or_b32 s20, s22, s20
	s_and_not1_b32 exec_lo, exec_lo, s20
	s_cbranch_execz .LBB3_101
.LBB3_98:                               ;   Parent Loop BB3_70 Depth=1
                                        ; =>  This Inner Loop Header: Depth=2
	flat_load_b32 v87, v[116:117]
	v_mov_b32_e32 v83, v81
	s_and_not1_b32 s21, s21, exec_lo
	s_mov_b32 s22, exec_lo
	s_wait_loadcnt_dscnt 0x0
	s_wait_xcnt 0x0
	v_cmpx_le_u32_e64 v87, v112
	s_cbranch_execz .LBB3_97
; %bb.99:                               ;   in Loop: Header=BB3_98 Depth=2
	s_mov_b32 s23, -1
	s_mov_b32 s24, exec_lo
	v_cmpx_eq_u32_e64 v87, v112
	s_cbranch_execz .LBB3_96
; %bb.100:                              ;   in Loop: Header=BB3_98 Depth=2
	flat_load_b32 v2, v[114:115]
	s_xor_b32 s23, exec_lo, -1
	s_branch .LBB3_96
.LBB3_101:                              ;   in Loop: Header=BB3_70 Depth=1
	s_or_b32 exec_lo, exec_lo, s20
	v_mov_b32_e32 v41, v83
.LBB3_102:                              ;   in Loop: Header=BB3_70 Depth=1
	s_or_b32 exec_lo, exec_lo, s19
	s_delay_alu instid0(SALU_CYCLE_1)
	s_mov_b32 s19, exec_lo
	s_wait_loadcnt_dscnt 0x0
	v_cmpx_gt_f32_e32 v2, v71
	s_cbranch_execz .LBB3_104
; %bb.103:                              ;   in Loop: Header=BB3_70 Depth=1
	v_mov_b32_e32 v71, v2
	flat_store_b32 v[36:37], v2
.LBB3_104:                              ;   in Loop: Header=BB3_70 Depth=1
	s_wait_xcnt 0x0
	s_or_b32 exec_lo, exec_lo, s19
	v_cmp_lt_f32_e32 vcc_lo, v71, v1
	v_dual_mov_b32 v2, v112 :: v_dual_cndmask_b32 v1, v1, v71
	v_cndmask_b32_e32 v85, v85, v112, vcc_lo
.LBB3_105:                              ;   in Loop: Header=BB3_70 Depth=1
	s_or_b32 exec_lo, exec_lo, s18
.LBB3_106:                              ;   in Loop: Header=BB3_70 Depth=1
	s_delay_alu instid0(SALU_CYCLE_1)
	s_or_b32 exec_lo, exec_lo, s17
.LBB3_107:                              ;   in Loop: Header=BB3_70 Depth=1
	s_delay_alu instid0(SALU_CYCLE_1)
	s_or_b32 exec_lo, exec_lo, s16
.LBB3_108:                              ;   in Loop: Header=BB3_70 Depth=1
	s_delay_alu instid0(SALU_CYCLE_1) | instskip(NEXT) | instid1(SALU_CYCLE_1)
	s_or_b32 exec_lo, exec_lo, s4
	s_mov_b32 s16, exec_lo
	v_cmpx_lt_i32_e32 -1, v102
	s_cbranch_execz .LBB3_306
; %bb.109:                              ;   in Loop: Header=BB3_70 Depth=1
	v_mov_b32_e32 v114, v0
	s_mov_b32 s4, exec_lo
	v_cmpx_ne_u32_e64 v102, v0
	s_cbranch_execz .LBB3_127
; %bb.110:                              ;   in Loop: Header=BB3_70 Depth=1
	flat_load_b32 v71, v[32:33]
	v_mov_b32_e32 v114, v0
	s_mov_b32 s17, exec_lo
	s_wait_loadcnt_dscnt 0x0
	v_cmpx_ngt_f32_e32 v71, v16
	s_cbranch_execz .LBB3_126
; %bb.111:                              ;   in Loop: Header=BB3_70 Depth=1
	v_dual_mov_b32 v103, v3 :: v_dual_mov_b32 v114, v0
	s_mov_b32 s18, exec_lo
	s_delay_alu instid0(VALU_DEP_1)
	v_add_nc_u64_e32 v[112:113], v[24:25], v[102:103]
	flat_load_u8 v81, v[112:113]
	s_wait_loadcnt_dscnt 0x0
	v_cmpx_eq_u16_e32 0, v81
	s_cbranch_execz .LBB3_125
; %bb.112:                              ;   in Loop: Header=BB3_70 Depth=1
	v_add_nc_u64_e32 v[112:113], v[20:21], v[102:103]
	v_mov_b32_e32 v114, v0
	s_mov_b32 s19, exec_lo
	flat_load_u8 v81, v[112:113]
	s_wait_loadcnt_dscnt 0x0
	v_cmpx_eq_u16_e32 0, v81
	s_cbranch_execz .LBB3_124
; %bb.113:                              ;   in Loop: Header=BB3_70 Depth=1
	v_mov_b32_e32 v81, v17
	s_mov_b32 s20, exec_lo
	v_cmpx_lt_i32_e64 v41, v13
	s_cbranch_execz .LBB3_121
; %bb.114:                              ;   in Loop: Header=BB3_70 Depth=1
	v_dual_mov_b32 v83, v41 :: v_dual_add_nc_u32 v112, v41, v84
	s_mov_b32 s21, 0
                                        ; implicit-def: $sgpr22
	s_delay_alu instid0(VALU_DEP_1) | instskip(NEXT) | instid1(VALU_DEP_1)
	v_dual_mov_b32 v81, v17 :: v_dual_ashrrev_i32 v113, 31, v112
	v_lshlrev_b64_e32 v[114:115], 2, v[112:113]
	s_delay_alu instid0(VALU_DEP_1)
	v_add_nc_u64_e32 v[112:113], v[22:23], v[114:115]
	v_add_nc_u64_e32 v[114:115], v[8:9], v[114:115]
	s_branch .LBB3_117
.LBB3_115:                              ;   in Loop: Header=BB3_117 Depth=2
	s_wait_xcnt 0x0
	s_or_b32 exec_lo, exec_lo, s25
	v_mov_b32_e32 v87, v41
	s_and_not1_b32 s22, s22, exec_lo
	s_and_b32 s24, s24, exec_lo
	s_delay_alu instid0(SALU_CYCLE_1)
	s_or_b32 s22, s22, s24
.LBB3_116:                              ;   in Loop: Header=BB3_117 Depth=2
	s_or_b32 exec_lo, exec_lo, s23
	v_dual_add_nc_u32 v83, 1, v83 :: v_dual_mov_b32 v41, v87
	s_xor_b32 s23, s22, -1
	v_add_nc_u64_e32 v[112:113], 4, v[112:113]
	v_add_nc_u64_e32 v[114:115], 4, v[114:115]
	s_delay_alu instid0(VALU_DEP_3) | instskip(SKIP_1) | instid1(SALU_CYCLE_1)
	v_cmp_ge_i32_e32 vcc_lo, v83, v13
	s_or_b32 s23, s23, vcc_lo
	s_and_b32 s23, exec_lo, s23
	s_delay_alu instid0(SALU_CYCLE_1) | instskip(NEXT) | instid1(SALU_CYCLE_1)
	s_or_b32 s21, s23, s21
	s_and_not1_b32 exec_lo, exec_lo, s21
	s_cbranch_execz .LBB3_120
.LBB3_117:                              ;   Parent Loop BB3_70 Depth=1
                                        ; =>  This Inner Loop Header: Depth=2
	flat_load_b32 v97, v[114:115]
	v_mov_b32_e32 v87, v83
	s_and_not1_b32 s22, s22, exec_lo
	s_mov_b32 s23, exec_lo
	s_wait_loadcnt_dscnt 0x0
	s_wait_xcnt 0x0
	v_cmpx_le_u32_e64 v97, v102
	s_cbranch_execz .LBB3_116
; %bb.118:                              ;   in Loop: Header=BB3_117 Depth=2
	s_mov_b32 s24, -1
	s_mov_b32 s25, exec_lo
	v_cmpx_eq_u32_e64 v97, v102
	s_cbranch_execz .LBB3_115
; %bb.119:                              ;   in Loop: Header=BB3_117 Depth=2
	flat_load_b32 v81, v[112:113]
	s_xor_b32 s24, exec_lo, -1
	s_branch .LBB3_115
.LBB3_120:                              ;   in Loop: Header=BB3_70 Depth=1
	s_or_b32 exec_lo, exec_lo, s21
	v_mov_b32_e32 v41, v87
.LBB3_121:                              ;   in Loop: Header=BB3_70 Depth=1
	s_or_b32 exec_lo, exec_lo, s20
	s_delay_alu instid0(SALU_CYCLE_1)
	s_mov_b32 s20, exec_lo
	s_wait_loadcnt_dscnt 0x0
	v_cmpx_gt_f32_e32 v81, v71
	s_cbranch_execz .LBB3_123
; %bb.122:                              ;   in Loop: Header=BB3_70 Depth=1
	v_mov_b32_e32 v71, v81
	flat_store_b32 v[32:33], v81
.LBB3_123:                              ;   in Loop: Header=BB3_70 Depth=1
	s_wait_xcnt 0x0
	s_or_b32 exec_lo, exec_lo, s20
	v_cmp_lt_f32_e32 vcc_lo, v71, v1
	v_dual_mov_b32 v114, v102 :: v_dual_cndmask_b32 v1, v1, v71
	v_cndmask_b32_e32 v85, v85, v102, vcc_lo
.LBB3_124:                              ;   in Loop: Header=BB3_70 Depth=1
	s_or_b32 exec_lo, exec_lo, s19
.LBB3_125:                              ;   in Loop: Header=BB3_70 Depth=1
	s_delay_alu instid0(SALU_CYCLE_1)
	s_or_b32 exec_lo, exec_lo, s18
.LBB3_126:                              ;   in Loop: Header=BB3_70 Depth=1
	s_delay_alu instid0(SALU_CYCLE_1)
	s_or_b32 exec_lo, exec_lo, s17
.LBB3_127:                              ;   in Loop: Header=BB3_70 Depth=1
	s_delay_alu instid0(SALU_CYCLE_1) | instskip(NEXT) | instid1(SALU_CYCLE_1)
	s_or_b32 exec_lo, exec_lo, s4
	s_mov_b32 s17, exec_lo
	v_cmpx_lt_i32_e32 -1, v100
	s_cbranch_execz .LBB3_305
; %bb.128:                              ;   in Loop: Header=BB3_70 Depth=1
	v_mov_b32_e32 v112, v0
	s_mov_b32 s4, exec_lo
	v_cmpx_ne_u32_e64 v100, v0
	s_cbranch_execz .LBB3_146
; %bb.129:                              ;   in Loop: Header=BB3_70 Depth=1
	flat_load_b32 v71, v[34:35]
	v_mov_b32_e32 v112, v0
	s_mov_b32 s18, exec_lo
	s_wait_loadcnt_dscnt 0x0
	v_cmpx_ngt_f32_e32 v71, v16
	s_cbranch_execz .LBB3_145
; %bb.130:                              ;   in Loop: Header=BB3_70 Depth=1
	v_dual_mov_b32 v101, v3 :: v_dual_mov_b32 v112, v0
	s_mov_b32 s19, exec_lo
	s_delay_alu instid0(VALU_DEP_1)
	v_add_nc_u64_e32 v[102:103], v[24:25], v[100:101]
	flat_load_u8 v81, v[102:103]
	s_wait_loadcnt_dscnt 0x0
	v_cmpx_eq_u16_e32 0, v81
	s_cbranch_execz .LBB3_144
; %bb.131:                              ;   in Loop: Header=BB3_70 Depth=1
	v_add_nc_u64_e32 v[102:103], v[20:21], v[100:101]
	v_mov_b32_e32 v112, v0
	s_mov_b32 s20, exec_lo
	flat_load_u8 v81, v[102:103]
	s_wait_loadcnt_dscnt 0x0
	v_cmpx_eq_u16_e32 0, v81
	s_cbranch_execz .LBB3_143
; %bb.132:                              ;   in Loop: Header=BB3_70 Depth=1
	v_mov_b32_e32 v81, v17
	s_mov_b32 s21, exec_lo
	v_cmpx_lt_i32_e64 v41, v13
	s_cbranch_execz .LBB3_140
; %bb.133:                              ;   in Loop: Header=BB3_70 Depth=1
	v_dual_mov_b32 v83, v41 :: v_dual_add_nc_u32 v102, v41, v84
	s_mov_b32 s22, 0
                                        ; implicit-def: $sgpr23
	s_delay_alu instid0(VALU_DEP_1) | instskip(NEXT) | instid1(VALU_DEP_1)
	v_dual_mov_b32 v81, v17 :: v_dual_ashrrev_i32 v103, 31, v102
	v_lshlrev_b64_e32 v[112:113], 2, v[102:103]
	s_delay_alu instid0(VALU_DEP_1)
	v_add_nc_u64_e32 v[102:103], v[22:23], v[112:113]
	v_add_nc_u64_e32 v[112:113], v[8:9], v[112:113]
	s_branch .LBB3_136
.LBB3_134:                              ;   in Loop: Header=BB3_136 Depth=2
	s_wait_xcnt 0x0
	s_or_b32 exec_lo, exec_lo, s26
	v_mov_b32_e32 v87, v83
	s_and_not1_b32 s23, s23, exec_lo
	s_and_b32 s25, s25, exec_lo
	s_delay_alu instid0(SALU_CYCLE_1)
	s_or_b32 s23, s23, s25
.LBB3_135:                              ;   in Loop: Header=BB3_136 Depth=2
	s_or_b32 exec_lo, exec_lo, s24
	v_dual_add_nc_u32 v41, 1, v41 :: v_dual_mov_b32 v83, v87
	s_xor_b32 s24, s23, -1
	v_add_nc_u64_e32 v[102:103], 4, v[102:103]
	v_add_nc_u64_e32 v[112:113], 4, v[112:113]
	s_delay_alu instid0(VALU_DEP_3) | instskip(SKIP_1) | instid1(SALU_CYCLE_1)
	v_cmp_ge_i32_e32 vcc_lo, v41, v13
	s_or_b32 s24, s24, vcc_lo
	s_and_b32 s24, exec_lo, s24
	s_delay_alu instid0(SALU_CYCLE_1) | instskip(NEXT) | instid1(SALU_CYCLE_1)
	s_or_b32 s22, s24, s22
	s_and_not1_b32 exec_lo, exec_lo, s22
	s_cbranch_execz .LBB3_139
.LBB3_136:                              ;   Parent Loop BB3_70 Depth=1
                                        ; =>  This Inner Loop Header: Depth=2
	flat_load_b32 v97, v[112:113]
	v_mov_b32_e32 v87, v41
	s_and_not1_b32 s23, s23, exec_lo
	s_mov_b32 s24, exec_lo
	s_wait_loadcnt_dscnt 0x0
	s_wait_xcnt 0x0
	v_cmpx_le_u32_e64 v97, v100
	s_cbranch_execz .LBB3_135
; %bb.137:                              ;   in Loop: Header=BB3_136 Depth=2
	s_mov_b32 s25, -1
	s_mov_b32 s26, exec_lo
	v_cmpx_eq_u32_e64 v97, v100
	s_cbranch_execz .LBB3_134
; %bb.138:                              ;   in Loop: Header=BB3_136 Depth=2
	flat_load_b32 v81, v[102:103]
	s_xor_b32 s25, exec_lo, -1
	s_branch .LBB3_134
.LBB3_139:                              ;   in Loop: Header=BB3_70 Depth=1
	s_or_b32 exec_lo, exec_lo, s22
	v_mov_b32_e32 v41, v87
.LBB3_140:                              ;   in Loop: Header=BB3_70 Depth=1
	s_or_b32 exec_lo, exec_lo, s21
	s_delay_alu instid0(SALU_CYCLE_1)
	s_mov_b32 s21, exec_lo
	s_wait_loadcnt_dscnt 0x0
	v_cmpx_gt_f32_e32 v81, v71
	s_cbranch_execz .LBB3_142
; %bb.141:                              ;   in Loop: Header=BB3_70 Depth=1
	v_mov_b32_e32 v71, v81
	flat_store_b32 v[34:35], v81
.LBB3_142:                              ;   in Loop: Header=BB3_70 Depth=1
	s_wait_xcnt 0x0
	s_or_b32 exec_lo, exec_lo, s21
	v_cmp_lt_f32_e32 vcc_lo, v71, v1
	v_dual_mov_b32 v112, v100 :: v_dual_cndmask_b32 v1, v1, v71
	v_cndmask_b32_e32 v85, v85, v100, vcc_lo
.LBB3_143:                              ;   in Loop: Header=BB3_70 Depth=1
	s_or_b32 exec_lo, exec_lo, s20
.LBB3_144:                              ;   in Loop: Header=BB3_70 Depth=1
	s_delay_alu instid0(SALU_CYCLE_1)
	s_or_b32 exec_lo, exec_lo, s19
.LBB3_145:                              ;   in Loop: Header=BB3_70 Depth=1
	s_delay_alu instid0(SALU_CYCLE_1)
	s_or_b32 exec_lo, exec_lo, s18
.LBB3_146:                              ;   in Loop: Header=BB3_70 Depth=1
	s_delay_alu instid0(SALU_CYCLE_1) | instskip(NEXT) | instid1(SALU_CYCLE_1)
	s_or_b32 exec_lo, exec_lo, s4
	s_mov_b32 s18, exec_lo
	v_cmpx_lt_i32_e32 -1, v98
	s_cbranch_execz .LBB3_304
; %bb.147:                              ;   in Loop: Header=BB3_70 Depth=1
	v_mov_b32_e32 v102, v0
	s_mov_b32 s4, exec_lo
	v_cmpx_ne_u32_e64 v98, v0
	s_cbranch_execz .LBB3_165
; %bb.148:                              ;   in Loop: Header=BB3_70 Depth=1
	flat_load_b32 v71, v[38:39]
	v_mov_b32_e32 v102, v0
	s_mov_b32 s19, exec_lo
	s_wait_loadcnt_dscnt 0x0
	v_cmpx_ngt_f32_e32 v71, v16
	s_cbranch_execz .LBB3_164
; %bb.149:                              ;   in Loop: Header=BB3_70 Depth=1
	v_dual_mov_b32 v99, v3 :: v_dual_mov_b32 v102, v0
	s_mov_b32 s20, exec_lo
	s_delay_alu instid0(VALU_DEP_1)
	v_add_nc_u64_e32 v[100:101], v[24:25], v[98:99]
	flat_load_u8 v81, v[100:101]
	s_wait_loadcnt_dscnt 0x0
	v_cmpx_eq_u16_e32 0, v81
	s_cbranch_execz .LBB3_163
; %bb.150:                              ;   in Loop: Header=BB3_70 Depth=1
	v_add_nc_u64_e32 v[100:101], v[20:21], v[98:99]
	v_mov_b32_e32 v102, v0
	s_mov_b32 s21, exec_lo
	flat_load_u8 v81, v[100:101]
	s_wait_loadcnt_dscnt 0x0
	v_cmpx_eq_u16_e32 0, v81
	s_cbranch_execz .LBB3_162
; %bb.151:                              ;   in Loop: Header=BB3_70 Depth=1
	v_mov_b32_e32 v81, v17
	s_mov_b32 s22, exec_lo
	v_cmpx_lt_i32_e64 v41, v13
	s_cbranch_execz .LBB3_159
; %bb.152:                              ;   in Loop: Header=BB3_70 Depth=1
	v_dual_mov_b32 v83, v41 :: v_dual_add_nc_u32 v100, v41, v84
	s_mov_b32 s23, 0
                                        ; implicit-def: $sgpr24
	s_delay_alu instid0(VALU_DEP_1) | instskip(NEXT) | instid1(VALU_DEP_1)
	v_dual_mov_b32 v81, v17 :: v_dual_ashrrev_i32 v101, 31, v100
	v_lshlrev_b64_e32 v[102:103], 2, v[100:101]
	s_delay_alu instid0(VALU_DEP_1)
	v_add_nc_u64_e32 v[100:101], v[22:23], v[102:103]
	v_add_nc_u64_e32 v[102:103], v[8:9], v[102:103]
	s_branch .LBB3_155
.LBB3_153:                              ;   in Loop: Header=BB3_155 Depth=2
	s_wait_xcnt 0x0
	s_or_b32 exec_lo, exec_lo, s27
	v_mov_b32_e32 v87, v83
	s_and_not1_b32 s24, s24, exec_lo
	s_and_b32 s26, s26, exec_lo
	s_delay_alu instid0(SALU_CYCLE_1)
	s_or_b32 s24, s24, s26
.LBB3_154:                              ;   in Loop: Header=BB3_155 Depth=2
	s_or_b32 exec_lo, exec_lo, s25
	v_dual_add_nc_u32 v41, 1, v41 :: v_dual_mov_b32 v83, v87
	s_xor_b32 s25, s24, -1
	v_add_nc_u64_e32 v[100:101], 4, v[100:101]
	v_add_nc_u64_e32 v[102:103], 4, v[102:103]
	s_delay_alu instid0(VALU_DEP_3) | instskip(SKIP_1) | instid1(SALU_CYCLE_1)
	v_cmp_ge_i32_e32 vcc_lo, v41, v13
	s_or_b32 s25, s25, vcc_lo
	s_and_b32 s25, exec_lo, s25
	s_delay_alu instid0(SALU_CYCLE_1) | instskip(NEXT) | instid1(SALU_CYCLE_1)
	s_or_b32 s23, s25, s23
	s_and_not1_b32 exec_lo, exec_lo, s23
	s_cbranch_execz .LBB3_158
.LBB3_155:                              ;   Parent Loop BB3_70 Depth=1
                                        ; =>  This Inner Loop Header: Depth=2
	flat_load_b32 v97, v[102:103]
	v_mov_b32_e32 v87, v41
	s_and_not1_b32 s24, s24, exec_lo
	s_mov_b32 s25, exec_lo
	s_wait_loadcnt_dscnt 0x0
	s_wait_xcnt 0x0
	v_cmpx_le_u32_e64 v97, v98
	s_cbranch_execz .LBB3_154
; %bb.156:                              ;   in Loop: Header=BB3_155 Depth=2
	s_mov_b32 s26, -1
	s_mov_b32 s27, exec_lo
	v_cmpx_eq_u32_e64 v97, v98
	s_cbranch_execz .LBB3_153
; %bb.157:                              ;   in Loop: Header=BB3_155 Depth=2
	flat_load_b32 v81, v[100:101]
	s_xor_b32 s26, exec_lo, -1
	s_branch .LBB3_153
.LBB3_158:                              ;   in Loop: Header=BB3_70 Depth=1
	s_or_b32 exec_lo, exec_lo, s23
	v_mov_b32_e32 v41, v87
.LBB3_159:                              ;   in Loop: Header=BB3_70 Depth=1
	s_or_b32 exec_lo, exec_lo, s22
	s_delay_alu instid0(SALU_CYCLE_1)
	s_mov_b32 s22, exec_lo
	s_wait_loadcnt_dscnt 0x0
	v_cmpx_gt_f32_e32 v81, v71
	s_cbranch_execz .LBB3_161
; %bb.160:                              ;   in Loop: Header=BB3_70 Depth=1
	v_mov_b32_e32 v71, v81
	flat_store_b32 v[38:39], v81
.LBB3_161:                              ;   in Loop: Header=BB3_70 Depth=1
	s_wait_xcnt 0x0
	s_or_b32 exec_lo, exec_lo, s22
	v_cmp_lt_f32_e32 vcc_lo, v71, v1
	v_dual_mov_b32 v102, v98 :: v_dual_cndmask_b32 v1, v1, v71
	v_cndmask_b32_e32 v85, v85, v98, vcc_lo
.LBB3_162:                              ;   in Loop: Header=BB3_70 Depth=1
	s_or_b32 exec_lo, exec_lo, s21
.LBB3_163:                              ;   in Loop: Header=BB3_70 Depth=1
	s_delay_alu instid0(SALU_CYCLE_1)
	s_or_b32 exec_lo, exec_lo, s20
.LBB3_164:                              ;   in Loop: Header=BB3_70 Depth=1
	s_delay_alu instid0(SALU_CYCLE_1)
	s_or_b32 exec_lo, exec_lo, s19
.LBB3_165:                              ;   in Loop: Header=BB3_70 Depth=1
	s_delay_alu instid0(SALU_CYCLE_1) | instskip(NEXT) | instid1(SALU_CYCLE_1)
	s_or_b32 exec_lo, exec_lo, s4
	s_mov_b32 s19, exec_lo
	v_cmpx_lt_i32_e32 -1, v96
	s_cbranch_execz .LBB3_303
; %bb.166:                              ;   in Loop: Header=BB3_70 Depth=1
	v_mov_b32_e32 v100, v0
	s_mov_b32 s4, exec_lo
	v_cmpx_ne_u32_e64 v96, v0
	s_cbranch_execz .LBB3_184
; %bb.167:                              ;   in Loop: Header=BB3_70 Depth=1
	flat_load_b32 v71, v[48:49]
	v_mov_b32_e32 v100, v0
	s_mov_b32 s20, exec_lo
	s_wait_loadcnt_dscnt 0x0
	v_cmpx_ngt_f32_e32 v71, v16
	s_cbranch_execz .LBB3_183
; %bb.168:                              ;   in Loop: Header=BB3_70 Depth=1
	v_dual_mov_b32 v97, v3 :: v_dual_mov_b32 v100, v0
	s_mov_b32 s21, exec_lo
	s_delay_alu instid0(VALU_DEP_1)
	v_add_nc_u64_e32 v[98:99], v[24:25], v[96:97]
	flat_load_u8 v81, v[98:99]
	s_wait_loadcnt_dscnt 0x0
	v_cmpx_eq_u16_e32 0, v81
	s_cbranch_execz .LBB3_182
; %bb.169:                              ;   in Loop: Header=BB3_70 Depth=1
	v_add_nc_u64_e32 v[98:99], v[20:21], v[96:97]
	v_mov_b32_e32 v100, v0
	s_mov_b32 s22, exec_lo
	flat_load_u8 v81, v[98:99]
	s_wait_loadcnt_dscnt 0x0
	v_cmpx_eq_u16_e32 0, v81
	s_cbranch_execz .LBB3_181
; %bb.170:                              ;   in Loop: Header=BB3_70 Depth=1
	v_mov_b32_e32 v81, v17
	s_mov_b32 s23, exec_lo
	v_cmpx_lt_i32_e64 v41, v13
	s_cbranch_execz .LBB3_178
; %bb.171:                              ;   in Loop: Header=BB3_70 Depth=1
	v_dual_mov_b32 v83, v41 :: v_dual_add_nc_u32 v98, v41, v84
	s_mov_b32 s24, 0
                                        ; implicit-def: $sgpr25
	s_delay_alu instid0(VALU_DEP_1) | instskip(NEXT) | instid1(VALU_DEP_1)
	v_dual_mov_b32 v81, v17 :: v_dual_ashrrev_i32 v99, 31, v98
	v_lshlrev_b64_e32 v[100:101], 2, v[98:99]
	s_delay_alu instid0(VALU_DEP_1)
	v_add_nc_u64_e32 v[98:99], v[22:23], v[100:101]
	v_add_nc_u64_e32 v[100:101], v[8:9], v[100:101]
	s_branch .LBB3_174
.LBB3_172:                              ;   in Loop: Header=BB3_174 Depth=2
	s_wait_xcnt 0x0
	s_or_b32 exec_lo, exec_lo, s28
	v_mov_b32_e32 v87, v83
	s_and_not1_b32 s25, s25, exec_lo
	s_and_b32 s27, s27, exec_lo
	s_delay_alu instid0(SALU_CYCLE_1)
	s_or_b32 s25, s25, s27
.LBB3_173:                              ;   in Loop: Header=BB3_174 Depth=2
	s_or_b32 exec_lo, exec_lo, s26
	v_dual_add_nc_u32 v41, 1, v41 :: v_dual_mov_b32 v83, v87
	s_xor_b32 s26, s25, -1
	v_add_nc_u64_e32 v[98:99], 4, v[98:99]
	v_add_nc_u64_e32 v[100:101], 4, v[100:101]
	s_delay_alu instid0(VALU_DEP_3) | instskip(SKIP_1) | instid1(SALU_CYCLE_1)
	v_cmp_ge_i32_e32 vcc_lo, v41, v13
	s_or_b32 s26, s26, vcc_lo
	s_and_b32 s26, exec_lo, s26
	s_delay_alu instid0(SALU_CYCLE_1) | instskip(NEXT) | instid1(SALU_CYCLE_1)
	s_or_b32 s24, s26, s24
	s_and_not1_b32 exec_lo, exec_lo, s24
	s_cbranch_execz .LBB3_177
.LBB3_174:                              ;   Parent Loop BB3_70 Depth=1
                                        ; =>  This Inner Loop Header: Depth=2
	flat_load_b32 v97, v[100:101]
	v_mov_b32_e32 v87, v41
	s_and_not1_b32 s25, s25, exec_lo
	s_mov_b32 s26, exec_lo
	s_wait_loadcnt_dscnt 0x0
	s_wait_xcnt 0x0
	v_cmpx_le_u32_e64 v97, v96
	s_cbranch_execz .LBB3_173
; %bb.175:                              ;   in Loop: Header=BB3_174 Depth=2
	s_mov_b32 s27, -1
	s_mov_b32 s28, exec_lo
	v_cmpx_eq_u32_e64 v97, v96
	s_cbranch_execz .LBB3_172
; %bb.176:                              ;   in Loop: Header=BB3_174 Depth=2
	flat_load_b32 v81, v[98:99]
	s_xor_b32 s27, exec_lo, -1
	s_branch .LBB3_172
.LBB3_177:                              ;   in Loop: Header=BB3_70 Depth=1
	s_or_b32 exec_lo, exec_lo, s24
	v_mov_b32_e32 v41, v87
.LBB3_178:                              ;   in Loop: Header=BB3_70 Depth=1
	s_or_b32 exec_lo, exec_lo, s23
	s_delay_alu instid0(SALU_CYCLE_1)
	s_mov_b32 s23, exec_lo
	s_wait_loadcnt_dscnt 0x0
	v_cmpx_gt_f32_e32 v81, v71
	s_cbranch_execz .LBB3_180
; %bb.179:                              ;   in Loop: Header=BB3_70 Depth=1
	v_mov_b32_e32 v71, v81
	flat_store_b32 v[48:49], v81
.LBB3_180:                              ;   in Loop: Header=BB3_70 Depth=1
	s_wait_xcnt 0x0
	s_or_b32 exec_lo, exec_lo, s23
	v_cmp_lt_f32_e32 vcc_lo, v71, v1
	v_dual_mov_b32 v100, v96 :: v_dual_cndmask_b32 v1, v1, v71
	v_cndmask_b32_e32 v85, v85, v96, vcc_lo
.LBB3_181:                              ;   in Loop: Header=BB3_70 Depth=1
	s_or_b32 exec_lo, exec_lo, s22
.LBB3_182:                              ;   in Loop: Header=BB3_70 Depth=1
	s_delay_alu instid0(SALU_CYCLE_1)
	s_or_b32 exec_lo, exec_lo, s21
.LBB3_183:                              ;   in Loop: Header=BB3_70 Depth=1
	s_delay_alu instid0(SALU_CYCLE_1)
	s_or_b32 exec_lo, exec_lo, s20
.LBB3_184:                              ;   in Loop: Header=BB3_70 Depth=1
	s_delay_alu instid0(SALU_CYCLE_1) | instskip(NEXT) | instid1(SALU_CYCLE_1)
	s_or_b32 exec_lo, exec_lo, s4
	s_mov_b32 s20, exec_lo
	v_cmpx_lt_i32_e32 -1, v86
	s_cbranch_execz .LBB3_302
; %bb.185:                              ;   in Loop: Header=BB3_70 Depth=1
	v_mov_b32_e32 v98, v0
	s_mov_b32 s4, exec_lo
	v_cmpx_ne_u32_e64 v86, v0
	s_cbranch_execz .LBB3_203
; %bb.186:                              ;   in Loop: Header=BB3_70 Depth=1
	flat_load_b32 v71, v[50:51]
	v_mov_b32_e32 v98, v0
	s_mov_b32 s21, exec_lo
	s_wait_loadcnt_dscnt 0x0
	v_cmpx_ngt_f32_e32 v71, v16
	s_cbranch_execz .LBB3_202
; %bb.187:                              ;   in Loop: Header=BB3_70 Depth=1
	v_dual_mov_b32 v87, v3 :: v_dual_mov_b32 v98, v0
	s_mov_b32 s22, exec_lo
	s_delay_alu instid0(VALU_DEP_1)
	v_add_nc_u64_e32 v[96:97], v[24:25], v[86:87]
	flat_load_u8 v81, v[96:97]
	s_wait_loadcnt_dscnt 0x0
	v_cmpx_eq_u16_e32 0, v81
	s_cbranch_execz .LBB3_201
; %bb.188:                              ;   in Loop: Header=BB3_70 Depth=1
	v_add_nc_u64_e32 v[96:97], v[20:21], v[86:87]
	v_mov_b32_e32 v98, v0
	s_mov_b32 s23, exec_lo
	flat_load_u8 v81, v[96:97]
	s_wait_loadcnt_dscnt 0x0
	v_cmpx_eq_u16_e32 0, v81
	s_cbranch_execz .LBB3_200
; %bb.189:                              ;   in Loop: Header=BB3_70 Depth=1
	v_mov_b32_e32 v81, v17
	s_mov_b32 s24, exec_lo
	v_cmpx_lt_i32_e64 v41, v13
	s_cbranch_execz .LBB3_197
; %bb.190:                              ;   in Loop: Header=BB3_70 Depth=1
	v_dual_mov_b32 v83, v41 :: v_dual_add_nc_u32 v96, v41, v84
	s_mov_b32 s25, 0
                                        ; implicit-def: $sgpr26
	s_delay_alu instid0(VALU_DEP_1) | instskip(NEXT) | instid1(VALU_DEP_1)
	v_dual_mov_b32 v81, v17 :: v_dual_ashrrev_i32 v97, 31, v96
	v_lshlrev_b64_e32 v[98:99], 2, v[96:97]
	s_delay_alu instid0(VALU_DEP_1)
	v_add_nc_u64_e32 v[96:97], v[22:23], v[98:99]
	v_add_nc_u64_e32 v[98:99], v[8:9], v[98:99]
	s_branch .LBB3_193
.LBB3_191:                              ;   in Loop: Header=BB3_193 Depth=2
	s_wait_xcnt 0x0
	s_or_b32 exec_lo, exec_lo, s29
	v_mov_b32_e32 v87, v83
	s_and_not1_b32 s26, s26, exec_lo
	s_and_b32 s28, s28, exec_lo
	s_delay_alu instid0(SALU_CYCLE_1)
	s_or_b32 s26, s26, s28
.LBB3_192:                              ;   in Loop: Header=BB3_193 Depth=2
	s_or_b32 exec_lo, exec_lo, s27
	v_dual_add_nc_u32 v41, 1, v41 :: v_dual_mov_b32 v83, v87
	s_xor_b32 s27, s26, -1
	v_add_nc_u64_e32 v[96:97], 4, v[96:97]
	v_add_nc_u64_e32 v[98:99], 4, v[98:99]
	s_delay_alu instid0(VALU_DEP_3) | instskip(SKIP_1) | instid1(SALU_CYCLE_1)
	v_cmp_ge_i32_e32 vcc_lo, v41, v13
	s_or_b32 s27, s27, vcc_lo
	s_and_b32 s27, exec_lo, s27
	s_delay_alu instid0(SALU_CYCLE_1) | instskip(NEXT) | instid1(SALU_CYCLE_1)
	s_or_b32 s25, s27, s25
	s_and_not1_b32 exec_lo, exec_lo, s25
	s_cbranch_execz .LBB3_196
.LBB3_193:                              ;   Parent Loop BB3_70 Depth=1
                                        ; =>  This Inner Loop Header: Depth=2
	flat_load_b32 v101, v[98:99]
	v_mov_b32_e32 v87, v41
	s_and_not1_b32 s26, s26, exec_lo
	s_mov_b32 s27, exec_lo
	s_wait_loadcnt_dscnt 0x0
	s_wait_xcnt 0x0
	v_cmpx_le_u32_e64 v101, v86
	s_cbranch_execz .LBB3_192
; %bb.194:                              ;   in Loop: Header=BB3_193 Depth=2
	s_mov_b32 s28, -1
	s_mov_b32 s29, exec_lo
	v_cmpx_eq_u32_e64 v101, v86
	s_cbranch_execz .LBB3_191
; %bb.195:                              ;   in Loop: Header=BB3_193 Depth=2
	flat_load_b32 v81, v[96:97]
	s_xor_b32 s28, exec_lo, -1
	s_branch .LBB3_191
.LBB3_196:                              ;   in Loop: Header=BB3_70 Depth=1
	s_or_b32 exec_lo, exec_lo, s25
	v_mov_b32_e32 v41, v87
.LBB3_197:                              ;   in Loop: Header=BB3_70 Depth=1
	s_or_b32 exec_lo, exec_lo, s24
	s_delay_alu instid0(SALU_CYCLE_1)
	s_mov_b32 s24, exec_lo
	s_wait_loadcnt_dscnt 0x0
	v_cmpx_gt_f32_e32 v81, v71
	s_cbranch_execz .LBB3_199
; %bb.198:                              ;   in Loop: Header=BB3_70 Depth=1
	v_mov_b32_e32 v71, v81
	flat_store_b32 v[50:51], v81
.LBB3_199:                              ;   in Loop: Header=BB3_70 Depth=1
	s_wait_xcnt 0x0
	s_or_b32 exec_lo, exec_lo, s24
	v_cmp_lt_f32_e32 vcc_lo, v71, v1
	v_dual_mov_b32 v98, v86 :: v_dual_cndmask_b32 v1, v1, v71
	v_cndmask_b32_e32 v85, v85, v86, vcc_lo
.LBB3_200:                              ;   in Loop: Header=BB3_70 Depth=1
	s_or_b32 exec_lo, exec_lo, s23
.LBB3_201:                              ;   in Loop: Header=BB3_70 Depth=1
	s_delay_alu instid0(SALU_CYCLE_1)
	s_or_b32 exec_lo, exec_lo, s22
.LBB3_202:                              ;   in Loop: Header=BB3_70 Depth=1
	s_delay_alu instid0(SALU_CYCLE_1)
	s_or_b32 exec_lo, exec_lo, s21
.LBB3_203:                              ;   in Loop: Header=BB3_70 Depth=1
	s_delay_alu instid0(SALU_CYCLE_1) | instskip(NEXT) | instid1(SALU_CYCLE_1)
	s_or_b32 exec_lo, exec_lo, s4
	s_mov_b32 s21, exec_lo
	v_cmpx_lt_i32_e32 -1, v82
	s_cbranch_execz .LBB3_301
; %bb.204:                              ;   in Loop: Header=BB3_70 Depth=1
	v_mov_b32_e32 v96, v0
	s_mov_b32 s4, exec_lo
	v_cmpx_ne_u32_e64 v82, v0
	s_cbranch_execz .LBB3_222
; %bb.205:                              ;   in Loop: Header=BB3_70 Depth=1
	flat_load_b32 v71, v[52:53]
	v_mov_b32_e32 v96, v0
	s_mov_b32 s22, exec_lo
	s_wait_loadcnt_dscnt 0x0
	v_cmpx_ngt_f32_e32 v71, v16
	s_cbranch_execz .LBB3_221
; %bb.206:                              ;   in Loop: Header=BB3_70 Depth=1
	v_dual_mov_b32 v83, v3 :: v_dual_mov_b32 v96, v0
	s_mov_b32 s23, exec_lo
	s_delay_alu instid0(VALU_DEP_1)
	v_add_nc_u64_e32 v[86:87], v[24:25], v[82:83]
	flat_load_u8 v81, v[86:87]
	s_wait_loadcnt_dscnt 0x0
	v_cmpx_eq_u16_e32 0, v81
	s_cbranch_execz .LBB3_220
; %bb.207:                              ;   in Loop: Header=BB3_70 Depth=1
	v_add_nc_u64_e32 v[86:87], v[20:21], v[82:83]
	v_mov_b32_e32 v96, v0
	s_mov_b32 s24, exec_lo
	flat_load_u8 v81, v[86:87]
	s_wait_loadcnt_dscnt 0x0
	v_cmpx_eq_u16_e32 0, v81
	s_cbranch_execz .LBB3_219
; %bb.208:                              ;   in Loop: Header=BB3_70 Depth=1
	v_mov_b32_e32 v81, v17
	s_mov_b32 s25, exec_lo
	v_cmpx_lt_i32_e64 v41, v13
	s_cbranch_execz .LBB3_216
; %bb.209:                              ;   in Loop: Header=BB3_70 Depth=1
	v_dual_mov_b32 v83, v41 :: v_dual_add_nc_u32 v86, v41, v84
	s_mov_b32 s26, 0
                                        ; implicit-def: $sgpr27
	s_delay_alu instid0(VALU_DEP_1) | instskip(NEXT) | instid1(VALU_DEP_1)
	v_dual_mov_b32 v81, v17 :: v_dual_ashrrev_i32 v87, 31, v86
	v_lshlrev_b64_e32 v[96:97], 2, v[86:87]
	s_delay_alu instid0(VALU_DEP_1)
	v_add_nc_u64_e32 v[86:87], v[22:23], v[96:97]
	v_add_nc_u64_e32 v[96:97], v[8:9], v[96:97]
	s_branch .LBB3_212
.LBB3_210:                              ;   in Loop: Header=BB3_212 Depth=2
	s_wait_xcnt 0x0
	s_or_b32 exec_lo, exec_lo, s40
	v_mov_b32_e32 v99, v83
	s_and_not1_b32 s27, s27, exec_lo
	s_and_b32 s29, s29, exec_lo
	s_delay_alu instid0(SALU_CYCLE_1)
	s_or_b32 s27, s27, s29
.LBB3_211:                              ;   in Loop: Header=BB3_212 Depth=2
	s_or_b32 exec_lo, exec_lo, s28
	v_dual_add_nc_u32 v41, 1, v41 :: v_dual_mov_b32 v83, v99
	s_xor_b32 s28, s27, -1
	v_add_nc_u64_e32 v[86:87], 4, v[86:87]
	v_add_nc_u64_e32 v[96:97], 4, v[96:97]
	s_delay_alu instid0(VALU_DEP_3) | instskip(SKIP_1) | instid1(SALU_CYCLE_1)
	v_cmp_ge_i32_e32 vcc_lo, v41, v13
	s_or_b32 s28, s28, vcc_lo
	s_and_b32 s28, exec_lo, s28
	s_delay_alu instid0(SALU_CYCLE_1) | instskip(NEXT) | instid1(SALU_CYCLE_1)
	s_or_b32 s26, s28, s26
	s_and_not1_b32 exec_lo, exec_lo, s26
	s_cbranch_execz .LBB3_215
.LBB3_212:                              ;   Parent Loop BB3_70 Depth=1
                                        ; =>  This Inner Loop Header: Depth=2
	flat_load_b32 v101, v[96:97]
	v_mov_b32_e32 v99, v41
	s_and_not1_b32 s27, s27, exec_lo
	s_mov_b32 s28, exec_lo
	s_wait_loadcnt_dscnt 0x0
	s_wait_xcnt 0x0
	v_cmpx_le_u32_e64 v101, v82
	s_cbranch_execz .LBB3_211
; %bb.213:                              ;   in Loop: Header=BB3_212 Depth=2
	s_mov_b32 s29, -1
	s_mov_b32 s40, exec_lo
	v_cmpx_eq_u32_e64 v101, v82
	s_cbranch_execz .LBB3_210
; %bb.214:                              ;   in Loop: Header=BB3_212 Depth=2
	flat_load_b32 v81, v[86:87]
	s_xor_b32 s29, exec_lo, -1
	s_branch .LBB3_210
.LBB3_215:                              ;   in Loop: Header=BB3_70 Depth=1
	s_or_b32 exec_lo, exec_lo, s26
	v_mov_b32_e32 v41, v99
.LBB3_216:                              ;   in Loop: Header=BB3_70 Depth=1
	s_or_b32 exec_lo, exec_lo, s25
	s_delay_alu instid0(SALU_CYCLE_1)
	s_mov_b32 s25, exec_lo
	s_wait_loadcnt_dscnt 0x0
	v_cmpx_gt_f32_e32 v81, v71
	s_cbranch_execz .LBB3_218
; %bb.217:                              ;   in Loop: Header=BB3_70 Depth=1
	v_mov_b32_e32 v71, v81
	flat_store_b32 v[52:53], v81
.LBB3_218:                              ;   in Loop: Header=BB3_70 Depth=1
	s_wait_xcnt 0x0
	s_or_b32 exec_lo, exec_lo, s25
	v_cmp_lt_f32_e32 vcc_lo, v71, v1
	v_dual_mov_b32 v96, v82 :: v_dual_cndmask_b32 v1, v1, v71
	v_cndmask_b32_e32 v85, v85, v82, vcc_lo
.LBB3_219:                              ;   in Loop: Header=BB3_70 Depth=1
	s_or_b32 exec_lo, exec_lo, s24
.LBB3_220:                              ;   in Loop: Header=BB3_70 Depth=1
	s_delay_alu instid0(SALU_CYCLE_1)
	s_or_b32 exec_lo, exec_lo, s23
.LBB3_221:                              ;   in Loop: Header=BB3_70 Depth=1
	s_delay_alu instid0(SALU_CYCLE_1)
	s_or_b32 exec_lo, exec_lo, s22
.LBB3_222:                              ;   in Loop: Header=BB3_70 Depth=1
	s_delay_alu instid0(SALU_CYCLE_1) | instskip(NEXT) | instid1(SALU_CYCLE_1)
	s_or_b32 exec_lo, exec_lo, s4
	s_mov_b32 s22, exec_lo
	v_cmpx_lt_i32_e32 -1, v80
	s_cbranch_execz .LBB3_300
; %bb.223:                              ;   in Loop: Header=BB3_70 Depth=1
	v_mov_b32_e32 v86, v0
	s_mov_b32 s4, exec_lo
	v_cmpx_ne_u32_e64 v80, v0
	s_cbranch_execz .LBB3_241
; %bb.224:                              ;   in Loop: Header=BB3_70 Depth=1
	flat_load_b32 v71, v[54:55]
	v_mov_b32_e32 v86, v0
	s_mov_b32 s23, exec_lo
	s_wait_loadcnt_dscnt 0x0
	v_cmpx_ngt_f32_e32 v71, v16
	s_cbranch_execz .LBB3_240
; %bb.225:                              ;   in Loop: Header=BB3_70 Depth=1
	v_dual_mov_b32 v81, v3 :: v_dual_mov_b32 v86, v0
	s_mov_b32 s24, exec_lo
	s_delay_alu instid0(VALU_DEP_1)
	v_add_nc_u64_e32 v[82:83], v[24:25], v[80:81]
	flat_load_u8 v82, v[82:83]
	s_wait_loadcnt_dscnt 0x0
	v_cmpx_eq_u16_e32 0, v82
	s_cbranch_execz .LBB3_239
; %bb.226:                              ;   in Loop: Header=BB3_70 Depth=1
	v_add_nc_u64_e32 v[82:83], v[20:21], v[80:81]
	v_mov_b32_e32 v86, v0
	s_mov_b32 s25, exec_lo
	flat_load_u8 v81, v[82:83]
	s_wait_loadcnt_dscnt 0x0
	v_cmpx_eq_u16_e32 0, v81
	s_cbranch_execz .LBB3_238
; %bb.227:                              ;   in Loop: Header=BB3_70 Depth=1
	v_mov_b32_e32 v81, v17
	s_mov_b32 s26, exec_lo
	v_cmpx_lt_i32_e64 v41, v13
	s_cbranch_execz .LBB3_235
; %bb.228:                              ;   in Loop: Header=BB3_70 Depth=1
	v_dual_mov_b32 v97, v41 :: v_dual_add_nc_u32 v82, v41, v84
	s_mov_b32 s27, 0
                                        ; implicit-def: $sgpr28
	s_delay_alu instid0(VALU_DEP_1) | instskip(NEXT) | instid1(VALU_DEP_1)
	v_dual_mov_b32 v81, v17 :: v_dual_ashrrev_i32 v83, 31, v82
	v_lshlrev_b64_e32 v[86:87], 2, v[82:83]
	s_delay_alu instid0(VALU_DEP_1)
	v_add_nc_u64_e32 v[82:83], v[22:23], v[86:87]
	v_add_nc_u64_e32 v[86:87], v[8:9], v[86:87]
	s_branch .LBB3_231
.LBB3_229:                              ;   in Loop: Header=BB3_231 Depth=2
	s_wait_xcnt 0x0
	s_or_b32 exec_lo, exec_lo, s41
	v_mov_b32_e32 v99, v97
	s_and_not1_b32 s28, s28, exec_lo
	s_and_b32 s40, s40, exec_lo
	s_delay_alu instid0(SALU_CYCLE_1)
	s_or_b32 s28, s28, s40
.LBB3_230:                              ;   in Loop: Header=BB3_231 Depth=2
	s_or_b32 exec_lo, exec_lo, s29
	v_dual_add_nc_u32 v41, 1, v41 :: v_dual_mov_b32 v97, v99
	s_xor_b32 s29, s28, -1
	v_add_nc_u64_e32 v[82:83], 4, v[82:83]
	v_add_nc_u64_e32 v[86:87], 4, v[86:87]
	s_delay_alu instid0(VALU_DEP_3) | instskip(SKIP_1) | instid1(SALU_CYCLE_1)
	v_cmp_ge_i32_e32 vcc_lo, v41, v13
	s_or_b32 s29, s29, vcc_lo
	s_and_b32 s29, exec_lo, s29
	s_delay_alu instid0(SALU_CYCLE_1) | instskip(NEXT) | instid1(SALU_CYCLE_1)
	s_or_b32 s27, s29, s27
	s_and_not1_b32 exec_lo, exec_lo, s27
	s_cbranch_execz .LBB3_234
.LBB3_231:                              ;   Parent Loop BB3_70 Depth=1
                                        ; =>  This Inner Loop Header: Depth=2
	flat_load_b32 v101, v[86:87]
	v_mov_b32_e32 v99, v41
	s_and_not1_b32 s28, s28, exec_lo
	s_mov_b32 s29, exec_lo
	s_wait_loadcnt_dscnt 0x0
	s_wait_xcnt 0x0
	v_cmpx_le_u32_e64 v101, v80
	s_cbranch_execz .LBB3_230
; %bb.232:                              ;   in Loop: Header=BB3_231 Depth=2
	s_mov_b32 s40, -1
	s_mov_b32 s41, exec_lo
	v_cmpx_eq_u32_e64 v101, v80
	s_cbranch_execz .LBB3_229
; %bb.233:                              ;   in Loop: Header=BB3_231 Depth=2
	flat_load_b32 v81, v[82:83]
	s_xor_b32 s40, exec_lo, -1
	s_branch .LBB3_229
.LBB3_234:                              ;   in Loop: Header=BB3_70 Depth=1
	s_or_b32 exec_lo, exec_lo, s27
	v_mov_b32_e32 v41, v99
.LBB3_235:                              ;   in Loop: Header=BB3_70 Depth=1
	s_or_b32 exec_lo, exec_lo, s26
	s_delay_alu instid0(SALU_CYCLE_1)
	s_mov_b32 s26, exec_lo
	s_wait_loadcnt_dscnt 0x0
	v_cmpx_gt_f32_e32 v81, v71
	s_cbranch_execz .LBB3_237
; %bb.236:                              ;   in Loop: Header=BB3_70 Depth=1
	v_mov_b32_e32 v71, v81
	flat_store_b32 v[54:55], v81
.LBB3_237:                              ;   in Loop: Header=BB3_70 Depth=1
	s_wait_xcnt 0x0
	s_or_b32 exec_lo, exec_lo, s26
	v_cmp_lt_f32_e32 vcc_lo, v71, v1
	v_dual_mov_b32 v86, v80 :: v_dual_cndmask_b32 v1, v1, v71
	v_cndmask_b32_e32 v85, v85, v80, vcc_lo
.LBB3_238:                              ;   in Loop: Header=BB3_70 Depth=1
	s_or_b32 exec_lo, exec_lo, s25
.LBB3_239:                              ;   in Loop: Header=BB3_70 Depth=1
	s_delay_alu instid0(SALU_CYCLE_1)
	s_or_b32 exec_lo, exec_lo, s24
.LBB3_240:                              ;   in Loop: Header=BB3_70 Depth=1
	s_delay_alu instid0(SALU_CYCLE_1)
	s_or_b32 exec_lo, exec_lo, s23
.LBB3_241:                              ;   in Loop: Header=BB3_70 Depth=1
	s_delay_alu instid0(SALU_CYCLE_1) | instskip(NEXT) | instid1(SALU_CYCLE_1)
	s_or_b32 exec_lo, exec_lo, s4
	s_mov_b32 s23, exec_lo
	v_cmpx_lt_i32_e32 -1, v70
	s_cbranch_execz .LBB3_299
; %bb.242:                              ;   in Loop: Header=BB3_70 Depth=1
	v_mov_b32_e32 v82, v0
	s_mov_b32 s4, exec_lo
	v_cmpx_ne_u32_e64 v70, v0
	s_cbranch_execz .LBB3_260
; %bb.243:                              ;   in Loop: Header=BB3_70 Depth=1
	flat_load_b32 v87, v[64:65]
	v_mov_b32_e32 v82, v0
	s_mov_b32 s24, exec_lo
	s_wait_loadcnt_dscnt 0x0
	v_cmpx_ngt_f32_e32 v87, v16
	s_cbranch_execz .LBB3_259
; %bb.244:                              ;   in Loop: Header=BB3_70 Depth=1
	v_dual_mov_b32 v71, v3 :: v_dual_mov_b32 v82, v0
	s_mov_b32 s25, exec_lo
	s_delay_alu instid0(VALU_DEP_1)
	v_add_nc_u64_e32 v[80:81], v[24:25], v[70:71]
	flat_load_u8 v80, v[80:81]
	s_wait_loadcnt_dscnt 0x0
	v_cmpx_eq_u16_e32 0, v80
	s_cbranch_execz .LBB3_258
; %bb.245:                              ;   in Loop: Header=BB3_70 Depth=1
	v_add_nc_u64_e32 v[80:81], v[20:21], v[70:71]
	v_mov_b32_e32 v82, v0
	s_mov_b32 s26, exec_lo
	flat_load_u8 v71, v[80:81]
	s_wait_loadcnt_dscnt 0x0
	v_cmpx_eq_u16_e32 0, v71
	s_cbranch_execz .LBB3_257
; %bb.246:                              ;   in Loop: Header=BB3_70 Depth=1
	v_mov_b32_e32 v71, v17
	s_mov_b32 s27, exec_lo
	v_cmpx_lt_i32_e64 v41, v13
	s_cbranch_execz .LBB3_254
; %bb.247:                              ;   in Loop: Header=BB3_70 Depth=1
	v_dual_mov_b32 v97, v41 :: v_dual_add_nc_u32 v80, v41, v84
	s_mov_b32 s28, 0
                                        ; implicit-def: $sgpr29
	s_delay_alu instid0(VALU_DEP_1) | instskip(NEXT) | instid1(VALU_DEP_1)
	v_dual_mov_b32 v71, v17 :: v_dual_ashrrev_i32 v81, 31, v80
	v_lshlrev_b64_e32 v[82:83], 2, v[80:81]
	s_delay_alu instid0(VALU_DEP_1)
	v_add_nc_u64_e32 v[80:81], v[22:23], v[82:83]
	v_add_nc_u64_e32 v[82:83], v[8:9], v[82:83]
	s_branch .LBB3_250
.LBB3_248:                              ;   in Loop: Header=BB3_250 Depth=2
	s_wait_xcnt 0x0
	s_or_b32 exec_lo, exec_lo, s42
	v_mov_b32_e32 v99, v97
	s_and_not1_b32 s29, s29, exec_lo
	s_and_b32 s41, s41, exec_lo
	s_delay_alu instid0(SALU_CYCLE_1)
	s_or_b32 s29, s29, s41
.LBB3_249:                              ;   in Loop: Header=BB3_250 Depth=2
	s_or_b32 exec_lo, exec_lo, s40
	v_dual_add_nc_u32 v41, 1, v41 :: v_dual_mov_b32 v97, v99
	s_xor_b32 s40, s29, -1
	v_add_nc_u64_e32 v[80:81], 4, v[80:81]
	v_add_nc_u64_e32 v[82:83], 4, v[82:83]
	s_delay_alu instid0(VALU_DEP_3) | instskip(SKIP_1) | instid1(SALU_CYCLE_1)
	v_cmp_ge_i32_e32 vcc_lo, v41, v13
	s_or_b32 s40, s40, vcc_lo
	s_and_b32 s40, exec_lo, s40
	s_delay_alu instid0(SALU_CYCLE_1) | instskip(NEXT) | instid1(SALU_CYCLE_1)
	s_or_b32 s28, s40, s28
	s_and_not1_b32 exec_lo, exec_lo, s28
	s_cbranch_execz .LBB3_253
.LBB3_250:                              ;   Parent Loop BB3_70 Depth=1
                                        ; =>  This Inner Loop Header: Depth=2
	flat_load_b32 v101, v[82:83]
	v_mov_b32_e32 v99, v41
	s_and_not1_b32 s29, s29, exec_lo
	s_mov_b32 s40, exec_lo
	s_wait_loadcnt_dscnt 0x0
	s_wait_xcnt 0x0
	v_cmpx_le_u32_e64 v101, v70
	s_cbranch_execz .LBB3_249
; %bb.251:                              ;   in Loop: Header=BB3_250 Depth=2
	s_mov_b32 s41, -1
	s_mov_b32 s42, exec_lo
	v_cmpx_eq_u32_e64 v101, v70
	s_cbranch_execz .LBB3_248
; %bb.252:                              ;   in Loop: Header=BB3_250 Depth=2
	flat_load_b32 v71, v[80:81]
	s_xor_b32 s41, exec_lo, -1
	s_branch .LBB3_248
.LBB3_253:                              ;   in Loop: Header=BB3_70 Depth=1
	s_or_b32 exec_lo, exec_lo, s28
	v_mov_b32_e32 v41, v99
.LBB3_254:                              ;   in Loop: Header=BB3_70 Depth=1
	s_or_b32 exec_lo, exec_lo, s27
	s_delay_alu instid0(SALU_CYCLE_1)
	s_mov_b32 s27, exec_lo
	s_wait_loadcnt_dscnt 0x0
	v_cmpx_gt_f32_e32 v71, v87
	s_cbranch_execz .LBB3_256
; %bb.255:                              ;   in Loop: Header=BB3_70 Depth=1
	v_mov_b32_e32 v87, v71
	flat_store_b32 v[64:65], v71
.LBB3_256:                              ;   in Loop: Header=BB3_70 Depth=1
	s_wait_xcnt 0x0
	s_or_b32 exec_lo, exec_lo, s27
	v_cmp_lt_f32_e32 vcc_lo, v87, v1
	v_dual_mov_b32 v82, v70 :: v_dual_cndmask_b32 v1, v1, v87
	v_cndmask_b32_e32 v85, v85, v70, vcc_lo
.LBB3_257:                              ;   in Loop: Header=BB3_70 Depth=1
	s_or_b32 exec_lo, exec_lo, s26
.LBB3_258:                              ;   in Loop: Header=BB3_70 Depth=1
	s_delay_alu instid0(SALU_CYCLE_1)
	s_or_b32 exec_lo, exec_lo, s25
.LBB3_259:                              ;   in Loop: Header=BB3_70 Depth=1
	s_delay_alu instid0(SALU_CYCLE_1)
	s_or_b32 exec_lo, exec_lo, s24
.LBB3_260:                              ;   in Loop: Header=BB3_70 Depth=1
	s_delay_alu instid0(SALU_CYCLE_1) | instskip(NEXT) | instid1(SALU_CYCLE_1)
	s_or_b32 exec_lo, exec_lo, s4
	s_mov_b32 s24, exec_lo
	v_cmpx_lt_i32_e32 -1, v6
	s_cbranch_execz .LBB3_298
; %bb.261:                              ;   in Loop: Header=BB3_70 Depth=1
	v_mov_b32_e32 v80, v0
	s_mov_b32 s4, exec_lo
	v_cmpx_ne_u32_e64 v6, v0
	s_cbranch_execz .LBB3_279
; %bb.262:                              ;   in Loop: Header=BB3_70 Depth=1
	flat_load_b32 v87, v[66:67]
	v_mov_b32_e32 v80, v0
	s_mov_b32 s25, exec_lo
	s_wait_loadcnt_dscnt 0x0
	v_cmpx_ngt_f32_e32 v87, v16
	s_cbranch_execz .LBB3_278
; %bb.263:                              ;   in Loop: Header=BB3_70 Depth=1
	v_dual_mov_b32 v83, v7 :: v_dual_mov_b32 v7, v3
	v_mov_b32_e32 v80, v0
	s_mov_b32 s26, exec_lo
	s_delay_alu instid0(VALU_DEP_2)
	v_add_nc_u64_e32 v[70:71], v[24:25], v[6:7]
	flat_load_u8 v70, v[70:71]
	s_wait_loadcnt_dscnt 0x0
	v_cmpx_eq_u16_e32 0, v70
	s_cbranch_execz .LBB3_277
; %bb.264:                              ;   in Loop: Header=BB3_70 Depth=1
	v_add_nc_u64_e32 v[70:71], v[20:21], v[6:7]
	v_mov_b32_e32 v80, v0
	s_mov_b32 s27, exec_lo
	flat_load_u8 v7, v[70:71]
	s_wait_loadcnt_dscnt 0x0
	v_cmpx_eq_u16_e32 0, v7
	s_cbranch_execz .LBB3_276
; %bb.265:                              ;   in Loop: Header=BB3_70 Depth=1
	v_mov_b32_e32 v7, v17
	s_mov_b32 s28, exec_lo
	v_cmpx_lt_i32_e64 v41, v13
	s_cbranch_execz .LBB3_273
; %bb.266:                              ;   in Loop: Header=BB3_70 Depth=1
	v_dual_mov_b32 v97, v41 :: v_dual_add_nc_u32 v70, v41, v84
	s_mov_b32 s29, 0
                                        ; implicit-def: $sgpr40
	s_delay_alu instid0(VALU_DEP_1) | instskip(NEXT) | instid1(VALU_DEP_1)
	v_dual_mov_b32 v7, v17 :: v_dual_ashrrev_i32 v71, 31, v70
	v_lshlrev_b64_e32 v[80:81], 2, v[70:71]
	s_delay_alu instid0(VALU_DEP_1)
	v_add_nc_u64_e32 v[70:71], v[22:23], v[80:81]
	v_add_nc_u64_e32 v[80:81], v[8:9], v[80:81]
	s_branch .LBB3_269
.LBB3_267:                              ;   in Loop: Header=BB3_269 Depth=2
	s_wait_xcnt 0x0
	s_or_b32 exec_lo, exec_lo, s43
	v_mov_b32_e32 v99, v97
	s_and_not1_b32 s40, s40, exec_lo
	s_and_b32 s42, s42, exec_lo
	s_delay_alu instid0(SALU_CYCLE_1)
	s_or_b32 s40, s40, s42
.LBB3_268:                              ;   in Loop: Header=BB3_269 Depth=2
	s_or_b32 exec_lo, exec_lo, s41
	v_dual_add_nc_u32 v41, 1, v41 :: v_dual_mov_b32 v97, v99
	s_xor_b32 s41, s40, -1
	v_add_nc_u64_e32 v[70:71], 4, v[70:71]
	v_add_nc_u64_e32 v[80:81], 4, v[80:81]
	s_delay_alu instid0(VALU_DEP_3) | instskip(SKIP_1) | instid1(SALU_CYCLE_1)
	v_cmp_ge_i32_e32 vcc_lo, v41, v13
	s_or_b32 s41, s41, vcc_lo
	s_and_b32 s41, exec_lo, s41
	s_delay_alu instid0(SALU_CYCLE_1) | instskip(NEXT) | instid1(SALU_CYCLE_1)
	s_or_b32 s29, s41, s29
	s_and_not1_b32 exec_lo, exec_lo, s29
	s_cbranch_execz .LBB3_272
.LBB3_269:                              ;   Parent Loop BB3_70 Depth=1
                                        ; =>  This Inner Loop Header: Depth=2
	flat_load_b32 v101, v[80:81]
	v_mov_b32_e32 v99, v41
	s_and_not1_b32 s40, s40, exec_lo
	s_mov_b32 s41, exec_lo
	s_wait_loadcnt_dscnt 0x0
	s_wait_xcnt 0x0
	v_cmpx_le_u32_e64 v101, v6
	s_cbranch_execz .LBB3_268
; %bb.270:                              ;   in Loop: Header=BB3_269 Depth=2
	s_mov_b32 s42, -1
	s_mov_b32 s43, exec_lo
	v_cmpx_eq_u32_e64 v101, v6
	s_cbranch_execz .LBB3_267
; %bb.271:                              ;   in Loop: Header=BB3_269 Depth=2
	flat_load_b32 v7, v[70:71]
	s_xor_b32 s42, exec_lo, -1
	s_branch .LBB3_267
.LBB3_272:                              ;   in Loop: Header=BB3_70 Depth=1
	s_or_b32 exec_lo, exec_lo, s29
	v_mov_b32_e32 v41, v99
.LBB3_273:                              ;   in Loop: Header=BB3_70 Depth=1
	s_or_b32 exec_lo, exec_lo, s28
	s_delay_alu instid0(SALU_CYCLE_1)
	s_mov_b32 s28, exec_lo
	s_wait_loadcnt_dscnt 0x0
	v_cmpx_gt_f32_e32 v7, v87
	s_cbranch_execz .LBB3_275
; %bb.274:                              ;   in Loop: Header=BB3_70 Depth=1
	v_mov_b32_e32 v87, v7
	flat_store_b32 v[66:67], v7
.LBB3_275:                              ;   in Loop: Header=BB3_70 Depth=1
	s_wait_xcnt 0x0
	s_or_b32 exec_lo, exec_lo, s28
	v_cmp_lt_f32_e32 vcc_lo, v87, v1
	v_dual_mov_b32 v80, v6 :: v_dual_cndmask_b32 v1, v1, v87
	v_cndmask_b32_e32 v85, v85, v6, vcc_lo
.LBB3_276:                              ;   in Loop: Header=BB3_70 Depth=1
	s_or_b32 exec_lo, exec_lo, s27
.LBB3_277:                              ;   in Loop: Header=BB3_70 Depth=1
	s_delay_alu instid0(SALU_CYCLE_1)
	s_or_b32 exec_lo, exec_lo, s26
	v_mov_b32_e32 v7, v83
.LBB3_278:                              ;   in Loop: Header=BB3_70 Depth=1
	s_or_b32 exec_lo, exec_lo, s25
.LBB3_279:                              ;   in Loop: Header=BB3_70 Depth=1
	s_delay_alu instid0(SALU_CYCLE_1) | instskip(SKIP_3) | instid1(SALU_CYCLE_1)
	s_or_b32 exec_lo, exec_lo, s4
	v_cmp_lt_i32_e32 vcc_lo, -1, v4
	v_cmp_ne_u32_e64 s4, v4, v0
	s_and_b32 s25, vcc_lo, s4
	s_and_saveexec_b32 s4, s25
	s_cbranch_execz .LBB3_297
; %bb.280:                              ;   in Loop: Header=BB3_70 Depth=1
	flat_load_b32 v87, v[68:69]
	v_mov_b32_e32 v6, v0
	s_mov_b32 s25, exec_lo
	s_wait_loadcnt_dscnt 0x0
	v_cmpx_ngt_f32_e32 v87, v16
	s_cbranch_execz .LBB3_296
; %bb.281:                              ;   in Loop: Header=BB3_70 Depth=1
	v_dual_mov_b32 v5, v3 :: v_dual_mov_b32 v81, v40
	v_mov_b32_e32 v83, v7
	s_delay_alu instid0(VALU_DEP_2)
	v_add_nc_u64_e32 v[6:7], v[24:25], v[4:5]
	flat_load_u8 v6, v[6:7]
	s_wait_loadcnt_dscnt 0x0
	v_cmp_eq_u16_e32 vcc_lo, 0, v6
	s_wait_xcnt 0x0
	v_mov_b32_e32 v6, v0
	s_and_saveexec_b32 s26, vcc_lo
	s_cbranch_execz .LBB3_295
; %bb.282:                              ;   in Loop: Header=BB3_70 Depth=1
	v_add_nc_u64_e32 v[6:7], v[20:21], v[4:5]
	s_mov_b32 s27, exec_lo
	flat_load_u8 v5, v[6:7]
	s_wait_xcnt 0x0
	v_mov_b32_e32 v6, v0
	s_wait_loadcnt_dscnt 0x0
	v_cmpx_eq_u16_e32 0, v5
	s_cbranch_execz .LBB3_294
; %bb.283:                              ;   in Loop: Header=BB3_70 Depth=1
	v_mov_b32_e32 v5, v17
	s_mov_b32 s28, exec_lo
	v_cmpx_lt_i32_e64 v41, v13
	s_cbranch_execz .LBB3_291
; %bb.284:                              ;   in Loop: Header=BB3_70 Depth=1
	v_dual_mov_b32 v97, v41 :: v_dual_add_nc_u32 v6, v41, v84
	s_mov_b32 s29, 0
                                        ; implicit-def: $sgpr40
	s_delay_alu instid0(VALU_DEP_1) | instskip(NEXT) | instid1(VALU_DEP_1)
	v_dual_mov_b32 v5, v17 :: v_dual_ashrrev_i32 v7, 31, v6
	v_lshlrev_b64_e32 v[70:71], 2, v[6:7]
	s_delay_alu instid0(VALU_DEP_1)
	v_add_nc_u64_e32 v[6:7], v[22:23], v[70:71]
	v_add_nc_u64_e32 v[70:71], v[8:9], v[70:71]
	s_branch .LBB3_287
.LBB3_285:                              ;   in Loop: Header=BB3_287 Depth=2
	s_wait_xcnt 0x0
	s_or_b32 exec_lo, exec_lo, s43
	v_mov_b32_e32 v99, v97
	s_and_not1_b32 s40, s40, exec_lo
	s_and_b32 s42, s42, exec_lo
	s_delay_alu instid0(SALU_CYCLE_1)
	s_or_b32 s40, s40, s42
.LBB3_286:                              ;   in Loop: Header=BB3_287 Depth=2
	s_or_b32 exec_lo, exec_lo, s41
	v_dual_add_nc_u32 v41, 1, v41 :: v_dual_mov_b32 v97, v99
	s_xor_b32 s41, s40, -1
	v_add_nc_u64_e32 v[6:7], 4, v[6:7]
	v_add_nc_u64_e32 v[70:71], 4, v[70:71]
	s_delay_alu instid0(VALU_DEP_3) | instskip(SKIP_1) | instid1(SALU_CYCLE_1)
	v_cmp_ge_i32_e32 vcc_lo, v41, v13
	s_or_b32 s41, s41, vcc_lo
	s_and_b32 s41, exec_lo, s41
	s_delay_alu instid0(SALU_CYCLE_1) | instskip(NEXT) | instid1(SALU_CYCLE_1)
	s_or_b32 s29, s41, s29
	s_and_not1_b32 exec_lo, exec_lo, s29
	s_cbranch_execz .LBB3_290
.LBB3_287:                              ;   Parent Loop BB3_70 Depth=1
                                        ; =>  This Inner Loop Header: Depth=2
	flat_load_b32 v101, v[70:71]
	v_mov_b32_e32 v99, v41
	s_and_not1_b32 s40, s40, exec_lo
	s_mov_b32 s41, exec_lo
	s_wait_loadcnt_dscnt 0x0
	s_wait_xcnt 0x0
	v_cmpx_le_u32_e64 v101, v4
	s_cbranch_execz .LBB3_286
; %bb.288:                              ;   in Loop: Header=BB3_287 Depth=2
	s_mov_b32 s42, -1
	s_mov_b32 s43, exec_lo
	v_cmpx_eq_u32_e64 v101, v4
	s_cbranch_execz .LBB3_285
; %bb.289:                              ;   in Loop: Header=BB3_287 Depth=2
	flat_load_b32 v5, v[6:7]
	s_xor_b32 s42, exec_lo, -1
	s_branch .LBB3_285
.LBB3_290:                              ;   in Loop: Header=BB3_70 Depth=1
	s_or_b32 exec_lo, exec_lo, s29
	v_mov_b32_e32 v41, v99
.LBB3_291:                              ;   in Loop: Header=BB3_70 Depth=1
	s_or_b32 exec_lo, exec_lo, s28
	s_delay_alu instid0(SALU_CYCLE_1)
	s_mov_b32 s28, exec_lo
	s_wait_loadcnt_dscnt 0x0
	v_cmpx_gt_f32_e32 v5, v87
	s_cbranch_execz .LBB3_293
; %bb.292:                              ;   in Loop: Header=BB3_70 Depth=1
	v_mov_b32_e32 v87, v5
	flat_store_b32 v[68:69], v5
.LBB3_293:                              ;   in Loop: Header=BB3_70 Depth=1
	s_wait_xcnt 0x0
	s_or_b32 exec_lo, exec_lo, s28
	v_cmp_lt_f32_e32 vcc_lo, v87, v1
	v_dual_mov_b32 v6, v4 :: v_dual_cndmask_b32 v1, v1, v87
	v_cndmask_b32_e32 v85, v85, v4, vcc_lo
.LBB3_294:                              ;   in Loop: Header=BB3_70 Depth=1
	s_or_b32 exec_lo, exec_lo, s27
.LBB3_295:                              ;   in Loop: Header=BB3_70 Depth=1
	s_delay_alu instid0(SALU_CYCLE_1)
	s_or_b32 exec_lo, exec_lo, s26
	v_dual_mov_b32 v5, 1 :: v_dual_mov_b32 v7, v83
	v_mov_b32_e32 v40, v81
.LBB3_296:                              ;   in Loop: Header=BB3_70 Depth=1
	s_or_b32 exec_lo, exec_lo, s25
	v_mov_b32_e32 v4, v6
.LBB3_297:                              ;   in Loop: Header=BB3_70 Depth=1
	s_or_b32 exec_lo, exec_lo, s4
	v_mov_b32_e32 v6, v80
.LBB3_298:                              ;   in Loop: Header=BB3_70 Depth=1
	s_or_b32 exec_lo, exec_lo, s24
	v_mov_b32_e32 v70, v82
.LBB3_299:                              ;   in Loop: Header=BB3_70 Depth=1
	s_or_b32 exec_lo, exec_lo, s23
	v_mov_b32_e32 v80, v86
.LBB3_300:                              ;   in Loop: Header=BB3_70 Depth=1
	s_or_b32 exec_lo, exec_lo, s22
	v_mov_b32_e32 v82, v96
.LBB3_301:                              ;   in Loop: Header=BB3_70 Depth=1
	s_or_b32 exec_lo, exec_lo, s21
	v_mov_b32_e32 v86, v98
.LBB3_302:                              ;   in Loop: Header=BB3_70 Depth=1
	s_or_b32 exec_lo, exec_lo, s20
	v_mov_b32_e32 v96, v100
.LBB3_303:                              ;   in Loop: Header=BB3_70 Depth=1
	s_or_b32 exec_lo, exec_lo, s19
	v_mov_b32_e32 v98, v102
.LBB3_304:                              ;   in Loop: Header=BB3_70 Depth=1
	s_or_b32 exec_lo, exec_lo, s18
	v_mov_b32_e32 v100, v112
.LBB3_305:                              ;   in Loop: Header=BB3_70 Depth=1
	s_or_b32 exec_lo, exec_lo, s17
	v_mov_b32_e32 v102, v114
.LBB3_306:                              ;   in Loop: Header=BB3_70 Depth=1
	s_or_b32 exec_lo, exec_lo, s16
	v_mov_b32_e32 v112, v2
.LBB3_307:                              ;   in Loop: Header=BB3_70 Depth=1
	s_or_b32 exec_lo, exec_lo, s15
	v_mov_b32_e32 v2, v118
.LBB3_308:                              ;   in Loop: Header=BB3_70 Depth=1
	s_or_b32 exec_lo, exec_lo, s7
	s_delay_alu instid0(VALU_DEP_1)
	v_mov_b32_e32 v71, v2
	s_wait_storecnt_dscnt 0x0
	s_barrier_signal -1
	s_barrier_wait -1
	s_and_saveexec_b32 s4, s3
	s_cbranch_execz .LBB3_332
; %bb.309:                              ;   in Loop: Header=BB3_70 Depth=1
	v_dual_mov_b32 v81, 12 :: v_dual_mov_b32 v114, v29
	s_mov_b32 s7, 0
                                        ; implicit-def: $sgpr15
	s_branch .LBB3_316
.LBB3_310:                              ;   in Loop: Header=BB3_316 Depth=2
	s_wait_xcnt 0x0
	s_or_b32 exec_lo, exec_lo, s21
	v_cmp_lt_f32_e32 vcc_lo, v83, v1
	v_cndmask_b32_e32 v1, v1, v83, vcc_lo
	v_cndmask_b32_e32 v85, v85, v2, vcc_lo
.LBB3_311:                              ;   in Loop: Header=BB3_316 Depth=2
	s_or_b32 exec_lo, exec_lo, s20
.LBB3_312:                              ;   in Loop: Header=BB3_316 Depth=2
	s_delay_alu instid0(SALU_CYCLE_1)
	s_or_b32 exec_lo, exec_lo, s19
.LBB3_313:                              ;   in Loop: Header=BB3_316 Depth=2
	s_delay_alu instid0(SALU_CYCLE_1)
	s_or_b32 exec_lo, exec_lo, s18
.LBB3_314:                              ;   in Loop: Header=BB3_316 Depth=2
	s_delay_alu instid0(SALU_CYCLE_1) | instskip(SKIP_2) | instid1(VALU_DEP_1)
	s_or_b32 exec_lo, exec_lo, s17
	v_add_nc_u32_e32 v81, 1, v81
	s_and_not1_b32 s15, s15, exec_lo
	v_mad_u32 v114, v81, s12, v26
	s_delay_alu instid0(VALU_DEP_1) | instskip(SKIP_1) | instid1(SALU_CYCLE_1)
	v_cmp_ge_i32_e32 vcc_lo, v114, v13
	s_and_b32 s17, vcc_lo, exec_lo
	s_or_b32 s15, s15, s17
.LBB3_315:                              ;   in Loop: Header=BB3_316 Depth=2
	s_or_b32 exec_lo, exec_lo, s16
	s_delay_alu instid0(SALU_CYCLE_1) | instskip(NEXT) | instid1(SALU_CYCLE_1)
	s_and_b32 s16, exec_lo, s15
	s_or_b32 s7, s16, s7
	s_delay_alu instid0(SALU_CYCLE_1)
	s_and_not1_b32 exec_lo, exec_lo, s7
	s_cbranch_execz .LBB3_331
.LBB3_316:                              ;   Parent Loop BB3_70 Depth=1
                                        ; =>  This Loop Header: Depth=2
                                        ;       Child Loop BB3_325 Depth 3
	s_delay_alu instid0(VALU_DEP_1) | instskip(SKIP_2) | instid1(VALU_DEP_1)
	v_add_nc_u32_e32 v116, v114, v10
	s_or_b32 s15, s15, exec_lo
	s_mov_b32 s16, exec_lo
	v_ashrrev_i32_e32 v117, 31, v116
	s_delay_alu instid0(VALU_DEP_1)
	v_lshl_add_u64 v[116:117], v[116:117], 2, v[8:9]
	flat_load_b32 v2, v[116:117]
	s_wait_loadcnt_dscnt 0x0
	s_wait_xcnt 0x0
	v_cmpx_lt_i32_e32 -1, v2
	s_cbranch_execz .LBB3_315
; %bb.317:                              ;   in Loop: Header=BB3_316 Depth=2
	s_mov_b32 s17, exec_lo
	v_cmpx_ne_u32_e64 v2, v0
	s_cbranch_execz .LBB3_314
; %bb.318:                              ;   in Loop: Header=BB3_316 Depth=2
	v_ashrrev_i32_e32 v115, 31, v114
	s_mov_b32 s18, exec_lo
	s_delay_alu instid0(VALU_DEP_1)
	v_lshl_add_u64 v[114:115], v[114:115], 2, v[18:19]
	flat_load_b32 v83, v[114:115]
	s_wait_loadcnt_dscnt 0x0
	s_wait_xcnt 0x0
	v_cmpx_ngt_f32_e32 v83, v16
	s_cbranch_execz .LBB3_313
; %bb.319:                              ;   in Loop: Header=BB3_316 Depth=2
	v_add_nc_u64_e32 v[116:117], v[24:25], v[2:3]
	s_mov_b32 s19, exec_lo
	flat_load_u8 v87, v[116:117]
	s_wait_loadcnt_dscnt 0x0
	s_wait_xcnt 0x0
	v_cmpx_eq_u16_e32 0, v87
	s_cbranch_execz .LBB3_312
; %bb.320:                              ;   in Loop: Header=BB3_316 Depth=2
	v_add_nc_u64_e32 v[116:117], v[20:21], v[2:3]
	s_mov_b32 s20, exec_lo
	flat_load_u8 v87, v[116:117]
	s_wait_loadcnt_dscnt 0x0
	s_wait_xcnt 0x0
	v_cmpx_eq_u16_e32 0, v87
	s_cbranch_execz .LBB3_311
; %bb.321:                              ;   in Loop: Header=BB3_316 Depth=2
	v_mov_b32_e32 v87, v17
	s_mov_b32 s21, exec_lo
	v_cmpx_lt_i32_e64 v41, v13
	s_cbranch_execz .LBB3_329
; %bb.322:                              ;   in Loop: Header=BB3_316 Depth=2
	v_dual_mov_b32 v97, v41 :: v_dual_add_nc_u32 v116, v84, v41
	s_mov_b32 s22, 0
                                        ; implicit-def: $sgpr23
	s_delay_alu instid0(VALU_DEP_1) | instskip(NEXT) | instid1(VALU_DEP_1)
	v_dual_mov_b32 v87, v17 :: v_dual_ashrrev_i32 v117, 31, v116
	v_lshlrev_b64_e32 v[118:119], 2, v[116:117]
	s_delay_alu instid0(VALU_DEP_1)
	v_add_nc_u64_e32 v[116:117], v[22:23], v[118:119]
	v_add_nc_u64_e32 v[118:119], v[8:9], v[118:119]
	s_branch .LBB3_325
.LBB3_323:                              ;   in Loop: Header=BB3_325 Depth=3
	s_wait_xcnt 0x0
	s_or_b32 exec_lo, exec_lo, s26
	v_mov_b32_e32 v99, v97
	s_and_not1_b32 s23, s23, exec_lo
	s_and_b32 s25, s25, exec_lo
	s_delay_alu instid0(SALU_CYCLE_1)
	s_or_b32 s23, s23, s25
.LBB3_324:                              ;   in Loop: Header=BB3_325 Depth=3
	s_or_b32 exec_lo, exec_lo, s24
	v_dual_add_nc_u32 v41, 1, v41 :: v_dual_mov_b32 v97, v99
	s_xor_b32 s24, s23, -1
	v_add_nc_u64_e32 v[116:117], 4, v[116:117]
	v_add_nc_u64_e32 v[118:119], 4, v[118:119]
	s_delay_alu instid0(VALU_DEP_3) | instskip(SKIP_1) | instid1(SALU_CYCLE_1)
	v_cmp_ge_i32_e32 vcc_lo, v41, v13
	s_or_b32 s24, s24, vcc_lo
	s_and_b32 s24, exec_lo, s24
	s_delay_alu instid0(SALU_CYCLE_1) | instskip(NEXT) | instid1(SALU_CYCLE_1)
	s_or_b32 s22, s24, s22
	s_and_not1_b32 exec_lo, exec_lo, s22
	s_cbranch_execz .LBB3_328
.LBB3_325:                              ;   Parent Loop BB3_70 Depth=1
                                        ;     Parent Loop BB3_316 Depth=2
                                        ; =>    This Inner Loop Header: Depth=3
	flat_load_b32 v101, v[118:119]
	v_mov_b32_e32 v99, v41
	s_and_not1_b32 s23, s23, exec_lo
	s_mov_b32 s24, exec_lo
	s_wait_loadcnt_dscnt 0x0
	s_wait_xcnt 0x0
	v_cmpx_le_u32_e64 v101, v2
	s_cbranch_execz .LBB3_324
; %bb.326:                              ;   in Loop: Header=BB3_325 Depth=3
	s_mov_b32 s25, -1
	s_mov_b32 s26, exec_lo
	v_cmpx_eq_u32_e64 v101, v2
	s_cbranch_execz .LBB3_323
; %bb.327:                              ;   in Loop: Header=BB3_325 Depth=3
	flat_load_b32 v87, v[116:117]
	s_xor_b32 s25, exec_lo, -1
	s_branch .LBB3_323
.LBB3_328:                              ;   in Loop: Header=BB3_316 Depth=2
	s_or_b32 exec_lo, exec_lo, s22
	v_mov_b32_e32 v41, v99
.LBB3_329:                              ;   in Loop: Header=BB3_316 Depth=2
	s_or_b32 exec_lo, exec_lo, s21
	s_delay_alu instid0(SALU_CYCLE_1)
	s_mov_b32 s21, exec_lo
	s_wait_loadcnt_dscnt 0x0
	v_cmpx_gt_f32_e32 v87, v83
	s_cbranch_execz .LBB3_310
; %bb.330:                              ;   in Loop: Header=BB3_316 Depth=2
	v_mov_b32_e32 v83, v87
	flat_store_b32 v[114:115], v87
	s_branch .LBB3_310
.LBB3_331:                              ;   in Loop: Header=BB3_70 Depth=1
	s_or_b32 exec_lo, exec_lo, s7
.LBB3_332:                              ;   in Loop: Header=BB3_70 Depth=1
	s_delay_alu instid0(SALU_CYCLE_1)
	s_or_b32 exec_lo, exec_lo, s4
	s_wait_storecnt_dscnt 0x0
	s_barrier_signal -1
	s_barrier_wait -1
	ds_store_b32 v28, v1
	ds_store_b32 v7, v85
	s_wait_dscnt 0x0
	s_barrier_signal -1
	s_barrier_wait -1
	s_and_saveexec_b32 s4, s0
	s_cbranch_execz .LBB3_384
; %bb.333:                              ;   in Loop: Header=BB3_70 Depth=1
	s_and_not1_b32 vcc_lo, exec_lo, s9
	s_cbranch_vccnz .LBB3_382
; %bb.334:                              ;   in Loop: Header=BB3_70 Depth=1
	ds_load_b32 v2, v3 offset:256
	s_and_not1_b32 vcc_lo, exec_lo, s11
	s_mov_b32 s7, 1
	s_cbranch_vccnz .LBB3_371
; %bb.335:                              ;   in Loop: Header=BB3_70 Depth=1
	s_mov_b32 s15, 0
	s_mov_b32 s7, 4
.LBB3_336:                              ;   Parent Loop BB3_70 Depth=1
                                        ; =>  This Inner Loop Header: Depth=2
	s_delay_alu instid0(SALU_CYCLE_1)
	v_mov_b32_e32 v81, s7
	s_mov_b32 s16, 0
	s_mov_b32 s17, exec_lo
                                        ; implicit-def: $vgpr83
	ds_load_b32 v81, v81
	s_wait_dscnt 0x0
	v_cmpx_nlt_f32_e32 v81, v1
	s_xor_b32 s17, exec_lo, s17
	s_cbranch_execnz .LBB3_354
; %bb.337:                              ;   in Loop: Header=BB3_336 Depth=2
	s_and_not1_saveexec_b32 s17, s17
	s_cbranch_execnz .LBB3_357
.LBB3_338:                              ;   in Loop: Header=BB3_336 Depth=2
	s_or_b32 exec_lo, exec_lo, s17
	s_and_saveexec_b32 s17, s16
	s_cbranch_execz .LBB3_340
.LBB3_339:                              ;   in Loop: Header=BB3_336 Depth=2
	s_wait_dscnt 0x0
	v_dual_mov_b32 v2, v83 :: v_dual_mov_b32 v1, v81
	ds_store_b32 v3, v83 offset:256
.LBB3_340:                              ;   in Loop: Header=BB3_336 Depth=2
	s_or_b32 exec_lo, exec_lo, s17
	v_mov_b32_e32 v81, s7
	s_mov_b32 s16, 0
	s_mov_b32 s17, exec_lo
                                        ; implicit-def: $vgpr83
	ds_load_b32 v81, v81 offset:4
	s_wait_dscnt 0x0
	v_cmpx_nlt_f32_e32 v81, v1
	s_xor_b32 s17, exec_lo, s17
	s_cbranch_execnz .LBB3_358
; %bb.341:                              ;   in Loop: Header=BB3_336 Depth=2
	s_and_not1_saveexec_b32 s17, s17
	s_cbranch_execnz .LBB3_361
.LBB3_342:                              ;   in Loop: Header=BB3_336 Depth=2
	s_or_b32 exec_lo, exec_lo, s17
	s_and_saveexec_b32 s17, s16
	s_cbranch_execz .LBB3_344
.LBB3_343:                              ;   in Loop: Header=BB3_336 Depth=2
	s_wait_dscnt 0x0
	v_dual_mov_b32 v2, v83 :: v_dual_mov_b32 v1, v81
	ds_store_b32 v3, v83 offset:256
.LBB3_344:                              ;   in Loop: Header=BB3_336 Depth=2
	s_or_b32 exec_lo, exec_lo, s17
	v_mov_b32_e32 v81, s7
	s_mov_b32 s16, 0
	s_mov_b32 s17, exec_lo
                                        ; implicit-def: $vgpr83
	ds_load_b32 v81, v81 offset:8
	s_wait_dscnt 0x0
	v_cmpx_nlt_f32_e32 v81, v1
	s_xor_b32 s17, exec_lo, s17
	s_cbranch_execnz .LBB3_362
; %bb.345:                              ;   in Loop: Header=BB3_336 Depth=2
	s_and_not1_saveexec_b32 s17, s17
	s_cbranch_execnz .LBB3_365
.LBB3_346:                              ;   in Loop: Header=BB3_336 Depth=2
	s_or_b32 exec_lo, exec_lo, s17
	s_and_saveexec_b32 s17, s16
	s_cbranch_execz .LBB3_348
.LBB3_347:                              ;   in Loop: Header=BB3_336 Depth=2
	s_wait_dscnt 0x0
	v_dual_mov_b32 v2, v83 :: v_dual_mov_b32 v1, v81
	ds_store_b32 v3, v83 offset:256
.LBB3_348:                              ;   in Loop: Header=BB3_336 Depth=2
	s_or_b32 exec_lo, exec_lo, s17
	v_mov_b32_e32 v81, s7
	s_mov_b32 s16, 0
	s_mov_b32 s17, exec_lo
                                        ; implicit-def: $vgpr83
	ds_load_b32 v81, v81 offset:12
	s_wait_dscnt 0x0
	v_cmpx_nlt_f32_e32 v81, v1
	s_xor_b32 s17, exec_lo, s17
	s_cbranch_execnz .LBB3_366
; %bb.349:                              ;   in Loop: Header=BB3_336 Depth=2
	s_and_not1_saveexec_b32 s17, s17
	s_cbranch_execnz .LBB3_369
.LBB3_350:                              ;   in Loop: Header=BB3_336 Depth=2
	s_or_b32 exec_lo, exec_lo, s17
	s_and_saveexec_b32 s17, s16
	s_cbranch_execz .LBB3_352
.LBB3_351:                              ;   in Loop: Header=BB3_336 Depth=2
	s_wait_dscnt 0x0
	v_dual_mov_b32 v2, v83 :: v_dual_mov_b32 v1, v81
	ds_store_b32 v3, v83 offset:256
.LBB3_352:                              ;   in Loop: Header=BB3_336 Depth=2
	s_or_b32 exec_lo, exec_lo, s17
	s_add_co_i32 s16, s15, 4
	s_add_co_i32 s7, s7, 16
	s_cmp_eq_u32 s14, s16
	s_cbranch_scc1 .LBB3_370
; %bb.353:                              ;   in Loop: Header=BB3_336 Depth=2
	s_mov_b32 s15, s16
	s_branch .LBB3_336
.LBB3_354:                              ;   in Loop: Header=BB3_336 Depth=2
	s_mov_b32 s18, exec_lo
                                        ; implicit-def: $vgpr83
	v_cmpx_eq_f32_e32 v81, v1
	s_xor_b32 s18, exec_lo, s18
	s_cbranch_execz .LBB3_356
; %bb.355:                              ;   in Loop: Header=BB3_336 Depth=2
	v_mov_b32_e32 v83, s7
	ds_load_b32 v83, v83 offset:256
	s_wait_dscnt 0x0
	v_cmp_lt_i32_e32 vcc_lo, v83, v2
	s_and_b32 s16, vcc_lo, exec_lo
.LBB3_356:                              ;   in Loop: Header=BB3_336 Depth=2
	s_or_b32 exec_lo, exec_lo, s18
	s_delay_alu instid0(SALU_CYCLE_1)
	s_and_b32 s16, s16, exec_lo
	s_and_not1_saveexec_b32 s17, s17
	s_cbranch_execz .LBB3_338
.LBB3_357:                              ;   in Loop: Header=BB3_336 Depth=2
	v_mov_b32_e32 v83, s7
	s_or_b32 s16, s16, exec_lo
	ds_load_b32 v83, v83 offset:256
	s_or_b32 exec_lo, exec_lo, s17
	s_and_saveexec_b32 s17, s16
	s_cbranch_execnz .LBB3_339
	s_branch .LBB3_340
.LBB3_358:                              ;   in Loop: Header=BB3_336 Depth=2
	s_mov_b32 s18, exec_lo
                                        ; implicit-def: $vgpr83
	v_cmpx_eq_f32_e32 v81, v1
	s_cbranch_execz .LBB3_360
; %bb.359:                              ;   in Loop: Header=BB3_336 Depth=2
	v_mov_b32_e32 v83, s7
	ds_load_b32 v83, v83 offset:260
	s_wait_dscnt 0x0
	v_cmp_lt_i32_e32 vcc_lo, v83, v2
	s_and_b32 s16, vcc_lo, exec_lo
.LBB3_360:                              ;   in Loop: Header=BB3_336 Depth=2
	s_or_b32 exec_lo, exec_lo, s18
	s_delay_alu instid0(SALU_CYCLE_1)
	s_and_b32 s16, s16, exec_lo
	s_and_not1_saveexec_b32 s17, s17
	s_cbranch_execz .LBB3_342
.LBB3_361:                              ;   in Loop: Header=BB3_336 Depth=2
	v_mov_b32_e32 v83, s7
	s_or_b32 s16, s16, exec_lo
	ds_load_b32 v83, v83 offset:260
	s_or_b32 exec_lo, exec_lo, s17
	s_and_saveexec_b32 s17, s16
	s_cbranch_execnz .LBB3_343
	s_branch .LBB3_344
.LBB3_362:                              ;   in Loop: Header=BB3_336 Depth=2
	s_mov_b32 s18, exec_lo
                                        ; implicit-def: $vgpr83
	v_cmpx_eq_f32_e32 v81, v1
	s_cbranch_execz .LBB3_364
; %bb.363:                              ;   in Loop: Header=BB3_336 Depth=2
	v_mov_b32_e32 v83, s7
	ds_load_b32 v83, v83 offset:264
	s_wait_dscnt 0x0
	v_cmp_lt_i32_e32 vcc_lo, v83, v2
	s_and_b32 s16, vcc_lo, exec_lo
.LBB3_364:                              ;   in Loop: Header=BB3_336 Depth=2
	s_or_b32 exec_lo, exec_lo, s18
	s_delay_alu instid0(SALU_CYCLE_1)
	s_and_b32 s16, s16, exec_lo
	s_and_not1_saveexec_b32 s17, s17
	s_cbranch_execz .LBB3_346
.LBB3_365:                              ;   in Loop: Header=BB3_336 Depth=2
	v_mov_b32_e32 v83, s7
	s_or_b32 s16, s16, exec_lo
	ds_load_b32 v83, v83 offset:264
	s_or_b32 exec_lo, exec_lo, s17
	s_and_saveexec_b32 s17, s16
	s_cbranch_execnz .LBB3_347
	s_branch .LBB3_348
.LBB3_366:                              ;   in Loop: Header=BB3_336 Depth=2
	s_mov_b32 s18, exec_lo
                                        ; implicit-def: $vgpr83
	v_cmpx_eq_f32_e32 v81, v1
	s_cbranch_execz .LBB3_368
; %bb.367:                              ;   in Loop: Header=BB3_336 Depth=2
	v_mov_b32_e32 v83, s7
	ds_load_b32 v83, v83 offset:268
	s_wait_dscnt 0x0
	v_cmp_lt_i32_e32 vcc_lo, v83, v2
	s_and_b32 s16, vcc_lo, exec_lo
.LBB3_368:                              ;   in Loop: Header=BB3_336 Depth=2
	s_or_b32 exec_lo, exec_lo, s18
	s_delay_alu instid0(SALU_CYCLE_1)
	s_and_b32 s16, s16, exec_lo
	s_and_not1_saveexec_b32 s17, s17
	s_cbranch_execz .LBB3_350
.LBB3_369:                              ;   in Loop: Header=BB3_336 Depth=2
	v_mov_b32_e32 v83, s7
	s_or_b32 s16, s16, exec_lo
	ds_load_b32 v83, v83 offset:268
	s_or_b32 exec_lo, exec_lo, s17
	s_and_saveexec_b32 s17, s16
	s_cbranch_execnz .LBB3_351
	s_branch .LBB3_352
.LBB3_370:                              ;   in Loop: Header=BB3_70 Depth=1
	s_add_co_i32 s7, s15, 5
.LBB3_371:                              ;   in Loop: Header=BB3_70 Depth=1
	s_and_not1_b32 vcc_lo, exec_lo, s13
	s_cbranch_vccnz .LBB3_382
; %bb.372:                              ;   in Loop: Header=BB3_70 Depth=1
	s_lshl_b32 s7, s7, 2
	s_mov_b32 s15, s10
	s_branch .LBB3_374
.LBB3_373:                              ;   in Loop: Header=BB3_374 Depth=2
	s_or_b32 exec_lo, exec_lo, s17
	s_add_co_i32 s15, s15, -1
	s_add_co_i32 s7, s7, 4
	s_cmp_lg_u32 s15, 0
	s_cbranch_scc0 .LBB3_382
.LBB3_374:                              ;   Parent Loop BB3_70 Depth=1
                                        ; =>  This Inner Loop Header: Depth=2
	v_mov_b32_e32 v81, s7
	s_mov_b32 s16, 0
	s_mov_b32 s17, exec_lo
                                        ; implicit-def: $vgpr83
	ds_load_b32 v81, v81
	s_wait_dscnt 0x0
	v_cmpx_nlt_f32_e32 v81, v1
	s_xor_b32 s17, exec_lo, s17
	s_cbranch_execnz .LBB3_377
; %bb.375:                              ;   in Loop: Header=BB3_374 Depth=2
	s_and_not1_saveexec_b32 s17, s17
	s_cbranch_execnz .LBB3_380
.LBB3_376:                              ;   in Loop: Header=BB3_374 Depth=2
	s_or_b32 exec_lo, exec_lo, s17
	s_and_saveexec_b32 s17, s16
	s_cbranch_execz .LBB3_373
	s_branch .LBB3_381
.LBB3_377:                              ;   in Loop: Header=BB3_374 Depth=2
	s_mov_b32 s18, exec_lo
                                        ; implicit-def: $vgpr83
	v_cmpx_eq_f32_e32 v81, v1
	s_cbranch_execz .LBB3_379
; %bb.378:                              ;   in Loop: Header=BB3_374 Depth=2
	v_mov_b32_e32 v83, s7
	ds_load_b32 v83, v83 offset:256
	s_wait_dscnt 0x0
	v_cmp_lt_i32_e32 vcc_lo, v83, v2
	s_and_b32 s16, vcc_lo, exec_lo
.LBB3_379:                              ;   in Loop: Header=BB3_374 Depth=2
	s_or_b32 exec_lo, exec_lo, s18
	s_delay_alu instid0(SALU_CYCLE_1)
	s_and_b32 s16, s16, exec_lo
	s_and_not1_saveexec_b32 s17, s17
	s_cbranch_execz .LBB3_376
.LBB3_380:                              ;   in Loop: Header=BB3_374 Depth=2
	v_mov_b32_e32 v83, s7
	s_or_b32 s16, s16, exec_lo
	ds_load_b32 v83, v83 offset:256
	s_or_b32 exec_lo, exec_lo, s17
	s_and_saveexec_b32 s17, s16
	s_cbranch_execz .LBB3_373
.LBB3_381:                              ;   in Loop: Header=BB3_374 Depth=2
	s_wait_dscnt 0x0
	v_dual_mov_b32 v2, v83 :: v_dual_mov_b32 v1, v81
	ds_store_b32 v3, v83 offset:256
	s_branch .LBB3_373
.LBB3_382:                              ;   in Loop: Header=BB3_70 Depth=1
	v_cmp_gt_f32_e32 vcc_lo, v1, v16
	s_and_b32 exec_lo, exec_lo, vcc_lo
; %bb.383:                              ;   in Loop: Header=BB3_70 Depth=1
	ds_store_b32 v3, v27 offset:256
.LBB3_384:                              ;   in Loop: Header=BB3_70 Depth=1
	s_or_b32 exec_lo, exec_lo, s4
	s_wait_dscnt 0x0
	s_barrier_signal -1
	s_barrier_wait -1
	ds_load_b32 v2, v3 offset:256
	s_wait_dscnt 0x0
	v_readfirstlane_b32 s4, v2
	v_cmp_gt_i32_e32 vcc_lo, 0, v2
	s_cmp_gt_i32 s4, -1
	s_cselect_b32 s4, -1, 0
	s_cbranch_vccnz .LBB3_388
; %bb.385:                              ;   in Loop: Header=BB3_70 Depth=1
	s_and_saveexec_b32 s15, s0
	s_cbranch_execz .LBB3_68
; %bb.386:                              ;   in Loop: Header=BB3_70 Depth=1
	v_add_nc_u64_e32 v[84:85], v[24:25], v[2:3]
	flat_store_b8 v[84:85], v5
	s_wait_xcnt 0x0
	s_and_b32 exec_lo, exec_lo, s2
	s_cbranch_execz .LBB3_68
; %bb.387:                              ;   in Loop: Header=BB3_70 Depth=1
	s_ashr_i32 s7, s6, 31
	s_delay_alu instid0(SALU_CYCLE_1)
	v_lshl_add_u64 v[84:85], s[6:7], 2, v[14:15]
	flat_store_b32 v[84:85], v2
	s_branch .LBB3_68
.LBB3_388:                              ;   in Loop: Header=BB3_70 Depth=1
	v_mov_b32_e32 v2, v40
	s_branch .LBB3_69
.LBB3_389:
	s_or_b32 exec_lo, exec_lo, s8
.LBB3_390:
	s_delay_alu instid0(SALU_CYCLE_1)
	s_or_b32 exec_lo, exec_lo, s5
	s_barrier_signal -1
	s_barrier_wait -1
	s_clause 0x1
	scratch_load_b32 v41, off, s32
	scratch_load_b32 v40, off, s32 offset:4
	v_mov_b32_e32 v0, v1
	s_wait_loadcnt 0x0
	s_set_pc_i64 s[30:31]
.Lfunc_end3:
	.size	_Z42generate_candidate_cluster_compact_storageiiPcPfS_PiS0_iiiS1_f, .Lfunc_end3-_Z42generate_candidate_cluster_compact_storageiiPcPfS_PiS0_iiiS1_f
                                        ; -- End function
	.set .L_Z42generate_candidate_cluster_compact_storageiiPcPfS_PiS0_iiiS1_f.num_vgpr, 120
	.set .L_Z42generate_candidate_cluster_compact_storageiiPcPfS_PiS0_iiiS1_f.num_agpr, 0
	.set .L_Z42generate_candidate_cluster_compact_storageiiPcPfS_PiS0_iiiS1_f.numbered_sgpr, 44
	.set .L_Z42generate_candidate_cluster_compact_storageiiPcPfS_PiS0_iiiS1_f.num_named_barrier, 0
	.set .L_Z42generate_candidate_cluster_compact_storageiiPcPfS_PiS0_iiiS1_f.private_seg_size, 12
	.set .L_Z42generate_candidate_cluster_compact_storageiiPcPfS_PiS0_iiiS1_f.uses_vcc, 1
	.set .L_Z42generate_candidate_cluster_compact_storageiiPcPfS_PiS0_iiiS1_f.uses_flat_scratch, 1
	.set .L_Z42generate_candidate_cluster_compact_storageiiPcPfS_PiS0_iiiS1_f.has_dyn_sized_stack, 0
	.set .L_Z42generate_candidate_cluster_compact_storageiiPcPfS_PiS0_iiiS1_f.has_recursion, 0
	.set .L_Z42generate_candidate_cluster_compact_storageiiPcPfS_PiS0_iiiS1_f.has_indirect_call, 0
	.section	.AMDGPU.csdata,"",@progbits
; Function info:
; codeLenInByte = 11552
; TotalNumSgprs: 46
; NumVgprs: 120
; ScratchSize: 12
; MemoryBound: 0
	.text
	.protected	_Z30trim_ungrouped_pnts_indr_arrayiPiPfS_PcS1_S_S_S0_S_iiif ; -- Begin function _Z30trim_ungrouped_pnts_indr_arrayiPiPfS_PcS1_S_S_S0_S_iiif
	.globl	_Z30trim_ungrouped_pnts_indr_arrayiPiPfS_PcS1_S_S_S0_S_iiif
	.p2align	8
	.type	_Z30trim_ungrouped_pnts_indr_arrayiPiPfS_PcS1_S_S_S0_S_iiif,@function
_Z30trim_ungrouped_pnts_indr_arrayiPiPfS_PcS1_S_S_S0_S_iiif: ; @_Z30trim_ungrouped_pnts_indr_arrayiPiPfS_PcS1_S_S_S0_S_iiif
; %bb.0:
	s_clause 0x5
	s_load_b32 s14, s[2:3], 0x0
	s_load_b256 s[44:51], s[2:3], 0x8
	s_load_b128 s[4:7], s[2:3], 0x28
	s_load_b64 s[10:11], s[2:3], 0x40
	s_load_b128 s[36:39], s[2:3], 0x50
	s_load_b64 s[34:35], s[2:3], 0x6c
	v_dual_mov_b32 v40, v0 :: v_dual_mov_b32 v31, v0
	s_get_pc_i64 s[12:13]
	s_add_nc_u64 s[12:13], s[12:13], _Z42generate_candidate_cluster_compact_storageiiPcPfS_PiS0_iiiS1_f@rel64+4
	s_add_nc_u64 s[8:9], s[2:3], 0x60
	s_mov_b32 s32, 0
	s_wait_kmcnt 0x0
	v_dual_mov_b32 v0, s14 :: v_dual_mov_b32 v1, s50
	v_dual_mov_b32 v2, s51 :: v_dual_mov_b32 v3, s46
	;; [unrolled: 1-line block ×8, first 2 shown]
	v_mov_b32_e32 v16, s39
	s_mov_b64 s[6:7], s[0:1]
	s_swap_pc_i64 s[30:31], s[12:13]
	v_cmp_eq_u32_e64 s0, 0, v40
	s_and_saveexec_b32 s1, s0
	s_cbranch_execz .LBB4_2
; %bb.1:
	v_mov_b32_e32 v0, 0
	ds_store_b32 v0, v0 offset:768
	ds_store_b8 v0, v0 offset:772
.LBB4_2:
	s_or_b32 exec_lo, exec_lo, s1
	s_wait_storecnt_dscnt 0x0
	s_barrier_signal -1
	s_barrier_wait -1
	s_mov_b32 s1, exec_lo
	v_cmpx_gt_i32_e64 s36, v40
	s_cbranch_execz .LBB4_20
; %bb.3:
	s_lshr_b32 s1, s34, 16
	s_and_b32 s2, s34, 0xffff
	s_and_b32 s35, s35, 0xffff
	s_mul_i32 s1, s1, s2
	s_and_b32 s2, s35, 0xffff
	v_lshl_add_u32 v0, v40, 2, 0x200
	s_mul_i32 s1, s1, s2
	v_dual_mov_b32 v1, 0 :: v_dual_mov_b32 v2, 1
	s_cmp_gt_i32 s1, 0
	v_not_b32_e32 v3, 41
	s_cselect_b32 s3, -1, 0
	s_mov_b32 s2, 0
	s_xor_b32 s3, s3, -1
	s_mov_b32 s4, 0
	s_branch .LBB4_7
.LBB4_4:                                ;   in Loop: Header=BB4_7 Depth=1
	s_wait_dscnt 0x0
	v_mov_b32_e32 v5, v4
.LBB4_5:                                ;   in Loop: Header=BB4_7 Depth=1
	ds_store_b32 v1, v5 offset:768
	ds_store_b8 v1, v1 offset:772
.LBB4_6:                                ;   in Loop: Header=BB4_7 Depth=1
	s_or_b32 exec_lo, exec_lo, s5
	s_add_co_i32 s4, s4, s1
	s_wait_storecnt_dscnt 0x0
	v_add_nc_u32_e32 v4, s4, v40
	s_barrier_signal -1
	s_barrier_wait -1
	s_delay_alu instid0(VALU_DEP_1) | instskip(SKIP_1) | instid1(SALU_CYCLE_1)
	v_cmp_le_i32_e32 vcc_lo, s36, v4
	s_or_b32 s2, vcc_lo, s2
	s_and_not1_b32 exec_lo, exec_lo, s2
	s_cbranch_execz .LBB4_20
.LBB4_7:                                ; =>This Loop Header: Depth=1
                                        ;     Child Loop BB4_18 Depth 2
	v_add_nc_u32_e32 v4, s4, v40
	s_mov_b32 s5, exec_lo
	global_load_b32 v4, v4, s[44:45] scale_offset
	s_wait_loadcnt 0x0
	global_load_u8 v5, v4, s[50:51]
	ds_store_b32 v0, v4
	s_wait_loadcnt 0x0
	v_cmpx_ne_u16_e32 1, v5
	s_xor_b32 s5, exec_lo, s5
	s_cbranch_execz .LBB4_9
; %bb.8:                                ;   in Loop: Header=BB4_7 Depth=1
	ds_load_b32 v5, v1 offset:768
	s_wait_dscnt 0x0
	v_add_nc_u32_e32 v5, v5, v40
	global_store_b32 v5, v4, s[44:45] scale_offset
.LBB4_9:                                ;   in Loop: Header=BB4_7 Depth=1
	s_wait_xcnt 0x0
	s_and_not1_saveexec_b32 s5, s5
	s_cbranch_execz .LBB4_11
; %bb.10:                               ;   in Loop: Header=BB4_7 Depth=1
	ds_store_b8 v1, v2 offset:772
	ds_store_b32 v0, v3
.LBB4_11:                               ;   in Loop: Header=BB4_7 Depth=1
	s_or_b32 exec_lo, exec_lo, s5
	s_wait_storecnt_dscnt 0x0
	s_barrier_signal -1
	s_barrier_wait -1
	s_and_saveexec_b32 s5, s0
	s_cbranch_execz .LBB4_6
; %bb.12:                               ;   in Loop: Header=BB4_7 Depth=1
	ds_load_u8 v5, v1 offset:772
	ds_load_b32 v4, v1 offset:768
	s_wait_dscnt 0x1
	v_cmp_eq_u32_e32 vcc_lo, 0, v5
	s_cbranch_vccz .LBB4_14
; %bb.13:                               ;   in Loop: Header=BB4_7 Depth=1
	s_wait_dscnt 0x0
	v_add_nc_u32_e32 v5, s1, v4
	s_cbranch_execnz .LBB4_5
	s_branch .LBB4_15
.LBB4_14:                               ;   in Loop: Header=BB4_7 Depth=1
                                        ; implicit-def: $vgpr5
.LBB4_15:                               ;   in Loop: Header=BB4_7 Depth=1
	s_cmp_ge_i32 s4, s36
	s_cselect_b32 s6, -1, 0
	s_delay_alu instid0(SALU_CYCLE_1) | instskip(NEXT) | instid1(SALU_CYCLE_1)
	s_or_b32 s6, s3, s6
	s_and_b32 vcc_lo, exec_lo, s6
	s_cbranch_vccnz .LBB4_4
; %bb.16:                               ;   in Loop: Header=BB4_7 Depth=1
	s_mov_b32 s6, 1
	s_movk_i32 s7, 0x200
	s_branch .LBB4_18
.LBB4_17:                               ;   in Loop: Header=BB4_18 Depth=2
	s_cmp_lt_i32 s6, s1
	s_cselect_b32 s8, -1, 0
	s_add_co_i32 s9, s4, s6
	s_delay_alu instid0(SALU_CYCLE_1)
	s_cmp_lt_i32 s9, s36
	s_cselect_b32 s9, -1, 0
	s_add_co_i32 s6, s6, 1
	s_and_b32 s8, s8, s9
	s_add_co_i32 s7, s7, 4
	s_and_not1_b32 vcc_lo, exec_lo, s8
	s_cbranch_vccnz .LBB4_4
.LBB4_18:                               ;   Parent Loop BB4_7 Depth=1
                                        ; =>  This Inner Loop Header: Depth=2
	v_mov_b32_e32 v5, s7
	ds_load_b32 v5, v5
	s_wait_dscnt 0x0
	v_cmp_eq_u32_e32 vcc_lo, 0xffffffd6, v5
	s_cbranch_vccnz .LBB4_17
; %bb.19:                               ;   in Loop: Header=BB4_18 Depth=2
	v_add_nc_u32_e32 v6, 1, v4
	global_store_b32 v4, v5, s[44:45] scale_offset
	s_wait_xcnt 0x0
	v_mov_b32_e32 v4, v6
	s_branch .LBB4_17
.LBB4_20:
	s_endpgm
	.section	.rodata,"a",@progbits
	.p2align	6, 0x0
	.amdhsa_kernel _Z30trim_ungrouped_pnts_indr_arrayiPiPfS_PcS1_S_S_S0_S_iiif
		.amdhsa_group_segment_fixed_size 776
		.amdhsa_private_segment_fixed_size 12
		.amdhsa_kernarg_size 352
		.amdhsa_user_sgpr_count 4
		.amdhsa_user_sgpr_dispatch_ptr 0
		.amdhsa_user_sgpr_queue_ptr 1
		.amdhsa_user_sgpr_kernarg_segment_ptr 1
		.amdhsa_user_sgpr_dispatch_id 0
		.amdhsa_user_sgpr_kernarg_preload_length 0
		.amdhsa_user_sgpr_kernarg_preload_offset 0
		.amdhsa_user_sgpr_private_segment_size 0
		.amdhsa_wavefront_size32 1
		.amdhsa_uses_dynamic_stack 0
		.amdhsa_enable_private_segment 1
		.amdhsa_system_sgpr_workgroup_id_x 1
		.amdhsa_system_sgpr_workgroup_id_y 1
		.amdhsa_system_sgpr_workgroup_id_z 1
		.amdhsa_system_sgpr_workgroup_info 0
		.amdhsa_system_vgpr_workitem_id 0
		.amdhsa_next_free_vgpr 120
		.amdhsa_next_free_sgpr 52
		.amdhsa_named_barrier_count 0
		.amdhsa_reserve_vcc 1
		.amdhsa_float_round_mode_32 0
		.amdhsa_float_round_mode_16_64 0
		.amdhsa_float_denorm_mode_32 3
		.amdhsa_float_denorm_mode_16_64 3
		.amdhsa_fp16_overflow 0
		.amdhsa_memory_ordered 1
		.amdhsa_forward_progress 1
		.amdhsa_inst_pref_size 6
		.amdhsa_round_robin_scheduling 0
		.amdhsa_exception_fp_ieee_invalid_op 0
		.amdhsa_exception_fp_denorm_src 0
		.amdhsa_exception_fp_ieee_div_zero 0
		.amdhsa_exception_fp_ieee_overflow 0
		.amdhsa_exception_fp_ieee_underflow 0
		.amdhsa_exception_fp_ieee_inexact 0
		.amdhsa_exception_int_div_zero 0
	.end_amdhsa_kernel
	.text
.Lfunc_end4:
	.size	_Z30trim_ungrouped_pnts_indr_arrayiPiPfS_PcS1_S_S_S0_S_iiif, .Lfunc_end4-_Z30trim_ungrouped_pnts_indr_arrayiPiPfS_PcS1_S_S_S0_S_iiif
                                        ; -- End function
	.set _Z30trim_ungrouped_pnts_indr_arrayiPiPfS_PcS1_S_S_S0_S_iiif.num_vgpr, max(41, .L_Z42generate_candidate_cluster_compact_storageiiPcPfS_PiS0_iiiS1_f.num_vgpr)
	.set _Z30trim_ungrouped_pnts_indr_arrayiPiPfS_PcS1_S_S_S0_S_iiif.num_agpr, max(0, .L_Z42generate_candidate_cluster_compact_storageiiPcPfS_PiS0_iiiS1_f.num_agpr)
	.set _Z30trim_ungrouped_pnts_indr_arrayiPiPfS_PcS1_S_S_S0_S_iiif.numbered_sgpr, max(52, .L_Z42generate_candidate_cluster_compact_storageiiPcPfS_PiS0_iiiS1_f.numbered_sgpr)
	.set _Z30trim_ungrouped_pnts_indr_arrayiPiPfS_PcS1_S_S_S0_S_iiif.num_named_barrier, max(0, .L_Z42generate_candidate_cluster_compact_storageiiPcPfS_PiS0_iiiS1_f.num_named_barrier)
	.set _Z30trim_ungrouped_pnts_indr_arrayiPiPfS_PcS1_S_S_S0_S_iiif.private_seg_size, 0+max(.L_Z42generate_candidate_cluster_compact_storageiiPcPfS_PiS0_iiiS1_f.private_seg_size)
	.set _Z30trim_ungrouped_pnts_indr_arrayiPiPfS_PcS1_S_S_S0_S_iiif.uses_vcc, or(1, .L_Z42generate_candidate_cluster_compact_storageiiPcPfS_PiS0_iiiS1_f.uses_vcc)
	.set _Z30trim_ungrouped_pnts_indr_arrayiPiPfS_PcS1_S_S_S0_S_iiif.uses_flat_scratch, or(0, .L_Z42generate_candidate_cluster_compact_storageiiPcPfS_PiS0_iiiS1_f.uses_flat_scratch)
	.set _Z30trim_ungrouped_pnts_indr_arrayiPiPfS_PcS1_S_S_S0_S_iiif.has_dyn_sized_stack, or(0, .L_Z42generate_candidate_cluster_compact_storageiiPcPfS_PiS0_iiiS1_f.has_dyn_sized_stack)
	.set _Z30trim_ungrouped_pnts_indr_arrayiPiPfS_PcS1_S_S_S0_S_iiif.has_recursion, or(0, .L_Z42generate_candidate_cluster_compact_storageiiPcPfS_PiS0_iiiS1_f.has_recursion)
	.set _Z30trim_ungrouped_pnts_indr_arrayiPiPfS_PcS1_S_S_S0_S_iiif.has_indirect_call, or(0, .L_Z42generate_candidate_cluster_compact_storageiiPcPfS_PiS0_iiiS1_f.has_indirect_call)
	.section	.AMDGPU.csdata,"",@progbits
; Kernel info:
; codeLenInByte = 712
; TotalNumSgprs: 54
; NumVgprs: 120
; ScratchSize: 12
; MemoryBound: 0
; FloatMode: 240
; IeeeMode: 1
; LDSByteSize: 776 bytes/workgroup (compile time only)
; SGPRBlocks: 0
; VGPRBlocks: 7
; NumSGPRsForWavesPerEU: 54
; NumVGPRsForWavesPerEU: 120
; NamedBarCnt: 0
; Occupancy: 8
; WaveLimiterHint : 1
; COMPUTE_PGM_RSRC2:SCRATCH_EN: 1
; COMPUTE_PGM_RSRC2:USER_SGPR: 4
; COMPUTE_PGM_RSRC2:TRAP_HANDLER: 0
; COMPUTE_PGM_RSRC2:TGID_X_EN: 1
; COMPUTE_PGM_RSRC2:TGID_Y_EN: 1
; COMPUTE_PGM_RSRC2:TGID_Z_EN: 1
; COMPUTE_PGM_RSRC2:TIDIG_COMP_CNT: 0
	.text
	.protected	_Z10QTC_devicePfPcS0_PiS1_S1_S_S1_iiifiii ; -- Begin function _Z10QTC_devicePfPcS0_PiS1_S1_S_S1_iiifiii
	.globl	_Z10QTC_devicePfPcS0_PiS1_S1_S_S1_iiifiii
	.p2align	8
	.type	_Z10QTC_devicePfPcS0_PiS1_S1_S_S1_iiifiii,@function
_Z10QTC_devicePfPcS0_PiS1_S1_S_S1_iiifiii: ; @_Z10QTC_devicePfPcS0_PiS1_S1_S_S1_iiifiii
; %bb.0:
	s_clause 0x2
	s_load_b96 s[36:38], s[2:3], 0x50
	s_load_b128 s[60:63], s[2:3], 0x40
	s_load_b512 s[44:59], s[2:3], 0x0
	s_mov_b64 s[34:35], s[0:1]
	s_bfe_u32 s0, ttmp6, 0x4000c
	s_and_b32 s1, ttmp6, 15
	s_add_co_i32 s0, s0, 1
	s_getreg_b32 s4, hwreg(HW_REG_IB_STS2, 6, 4)
	s_mul_i32 s0, ttmp9, s0
	v_mov_b32_e32 v40, v0
	s_add_co_i32 s1, s1, s0
	s_cmp_eq_u32 s4, 0
	s_mov_b32 s32, 0
	s_cselect_b32 s33, ttmp9, s1
	s_wait_kmcnt 0x0
	s_mul_i32 s0, s37, s33
	s_delay_alu instid0(SALU_CYCLE_1) | instskip(NEXT) | instid1(SALU_CYCLE_1)
	s_add_co_i32 s39, s0, s36
	s_cmp_ge_i32 s39, s60
	s_cbranch_scc1 .LBB5_5
; %bb.1:
	s_mul_i32 s4, s61, s33
	s_mul_i32 s6, s62, s33
	s_ashr_i32 s5, s4, 31
	s_ashr_i32 s7, s6, 31
	;; [unrolled: 1-line block ×4, first 2 shown]
	s_add_nc_u64 s[46:47], s[46:47], s[4:5]
	s_lshl_b64 s[4:5], s[6:7], 2
	s_add_nc_u64 s[0:1], s[36:37], s[0:1]
	v_dual_mov_b32 v42, -1 :: v_dual_mov_b32 v44, 0
	s_add_nc_u64 s[56:57], s[56:57], s[4:5]
	s_lshl_b64 s[0:1], s[0:1], 2
	s_ashr_i32 s5, s38, 31
	s_mov_b32 s4, s38
	s_add_nc_u64 s[54:55], s[54:55], s[0:1]
	s_lshl_b64 s[66:67], s[4:5], 2
	s_add_nc_u64 s[36:37], s[2:3], 0x60
	s_get_pc_i64 s[64:65]
	s_add_nc_u64 s[64:65], s[64:65], _Z42generate_candidate_cluster_compact_storageiiPcPfS_PiS0_iiiS1_f@rel64+4
	s_branch .LBB5_3
.LBB5_2:                                ;   in Loop: Header=BB5_3 Depth=1
	s_or_b32 exec_lo, exec_lo, s68
	s_add_co_i32 s39, s39, s38
	s_add_nc_u64 s[54:55], s[54:55], s[66:67]
	s_cmp_lt_i32 s39, s60
	s_cbranch_scc0 .LBB5_6
.LBB5_3:                                ; =>This Inner Loop Header: Depth=1
	global_load_b32 v41, v44, s[54:55]
	s_mov_b32 s68, exec_lo
	s_wait_loadcnt 0x0
	global_load_b32 v0, v41, s[58:59] scale_offset
	s_wait_loadcnt 0x0
	s_wait_xcnt 0x0
	v_cmpx_gt_i32_e64 v0, v42
	s_cbranch_execz .LBB5_2
; %bb.4:                                ;   in Loop: Header=BB5_3 Depth=1
	v_dual_mov_b32 v31, v40 :: v_dual_mov_b32 v0, v41
	v_dual_mov_b32 v1, s46 :: v_dual_mov_b32 v2, s47
	;; [unrolled: 1-line block ×9, first 2 shown]
	s_mov_b64 s[6:7], s[34:35]
	s_mov_b64 s[8:9], s[36:37]
	s_swap_pc_i64 s[30:31], s[64:65]
	v_cmp_gt_i32_e32 vcc_lo, v0, v42
	v_dual_cndmask_b32 v43, v43, v41 :: v_dual_max_i32 v42, v0, v42
	s_branch .LBB5_2
.LBB5_5:
	v_mov_b32_e32 v42, -1
.LBB5_6:
	s_mov_b32 s0, exec_lo
	v_cmpx_eq_u32_e32 0, v40
	s_cbranch_execz .LBB5_8
; %bb.7:
	s_lshl_b32 s0, s33, 1
	v_mov_b32_e32 v0, 0
	s_ashr_i32 s1, s0, 31
	s_delay_alu instid0(SALU_CYCLE_1) | instskip(NEXT) | instid1(SALU_CYCLE_1)
	s_lshl_b64 s[0:1], s[0:1], 2
	s_add_nc_u64 s[0:1], s[52:53], s[0:1]
	global_store_b64 v0, v[42:43], s[0:1]
.LBB5_8:
	s_endpgm
	.section	.rodata,"a",@progbits
	.p2align	6, 0x0
	.amdhsa_kernel _Z10QTC_devicePfPcS0_PiS1_S1_S_S1_iiifiii
		.amdhsa_group_segment_fixed_size 512
		.amdhsa_private_segment_fixed_size 12
		.amdhsa_kernarg_size 352
		.amdhsa_user_sgpr_count 4
		.amdhsa_user_sgpr_dispatch_ptr 0
		.amdhsa_user_sgpr_queue_ptr 1
		.amdhsa_user_sgpr_kernarg_segment_ptr 1
		.amdhsa_user_sgpr_dispatch_id 0
		.amdhsa_user_sgpr_kernarg_preload_length 0
		.amdhsa_user_sgpr_kernarg_preload_offset 0
		.amdhsa_user_sgpr_private_segment_size 0
		.amdhsa_wavefront_size32 1
		.amdhsa_uses_dynamic_stack 0
		.amdhsa_enable_private_segment 1
		.amdhsa_system_sgpr_workgroup_id_x 1
		.amdhsa_system_sgpr_workgroup_id_y 1
		.amdhsa_system_sgpr_workgroup_id_z 1
		.amdhsa_system_sgpr_workgroup_info 0
		.amdhsa_system_vgpr_workitem_id 0
		.amdhsa_next_free_vgpr 120
		.amdhsa_next_free_sgpr 69
		.amdhsa_named_barrier_count 0
		.amdhsa_reserve_vcc 1
		.amdhsa_float_round_mode_32 0
		.amdhsa_float_round_mode_16_64 0
		.amdhsa_float_denorm_mode_32 3
		.amdhsa_float_denorm_mode_16_64 3
		.amdhsa_fp16_overflow 0
		.amdhsa_memory_ordered 1
		.amdhsa_forward_progress 1
		.amdhsa_inst_pref_size 4
		.amdhsa_round_robin_scheduling 0
		.amdhsa_exception_fp_ieee_invalid_op 0
		.amdhsa_exception_fp_denorm_src 0
		.amdhsa_exception_fp_ieee_div_zero 0
		.amdhsa_exception_fp_ieee_overflow 0
		.amdhsa_exception_fp_ieee_underflow 0
		.amdhsa_exception_fp_ieee_inexact 0
		.amdhsa_exception_int_div_zero 0
	.end_amdhsa_kernel
	.text
.Lfunc_end5:
	.size	_Z10QTC_devicePfPcS0_PiS1_S1_S_S1_iiifiii, .Lfunc_end5-_Z10QTC_devicePfPcS0_PiS1_S1_S_S1_iiifiii
                                        ; -- End function
	.set _Z10QTC_devicePfPcS0_PiS1_S1_S_S1_iiifiii.num_vgpr, max(45, .L_Z42generate_candidate_cluster_compact_storageiiPcPfS_PiS0_iiiS1_f.num_vgpr)
	.set _Z10QTC_devicePfPcS0_PiS1_S1_S_S1_iiifiii.num_agpr, max(0, .L_Z42generate_candidate_cluster_compact_storageiiPcPfS_PiS0_iiiS1_f.num_agpr)
	.set _Z10QTC_devicePfPcS0_PiS1_S1_S_S1_iiifiii.numbered_sgpr, max(69, .L_Z42generate_candidate_cluster_compact_storageiiPcPfS_PiS0_iiiS1_f.numbered_sgpr)
	.set _Z10QTC_devicePfPcS0_PiS1_S1_S_S1_iiifiii.num_named_barrier, max(0, .L_Z42generate_candidate_cluster_compact_storageiiPcPfS_PiS0_iiiS1_f.num_named_barrier)
	.set _Z10QTC_devicePfPcS0_PiS1_S1_S_S1_iiifiii.private_seg_size, 0+max(.L_Z42generate_candidate_cluster_compact_storageiiPcPfS_PiS0_iiiS1_f.private_seg_size)
	.set _Z10QTC_devicePfPcS0_PiS1_S1_S_S1_iiifiii.uses_vcc, or(1, .L_Z42generate_candidate_cluster_compact_storageiiPcPfS_PiS0_iiiS1_f.uses_vcc)
	.set _Z10QTC_devicePfPcS0_PiS1_S1_S_S1_iiifiii.uses_flat_scratch, or(0, .L_Z42generate_candidate_cluster_compact_storageiiPcPfS_PiS0_iiiS1_f.uses_flat_scratch)
	.set _Z10QTC_devicePfPcS0_PiS1_S1_S_S1_iiifiii.has_dyn_sized_stack, or(0, .L_Z42generate_candidate_cluster_compact_storageiiPcPfS_PiS0_iiiS1_f.has_dyn_sized_stack)
	.set _Z10QTC_devicePfPcS0_PiS1_S1_S_S1_iiifiii.has_recursion, or(0, .L_Z42generate_candidate_cluster_compact_storageiiPcPfS_PiS0_iiiS1_f.has_recursion)
	.set _Z10QTC_devicePfPcS0_PiS1_S1_S_S1_iiifiii.has_indirect_call, or(0, .L_Z42generate_candidate_cluster_compact_storageiiPcPfS_PiS0_iiiS1_f.has_indirect_call)
	.section	.AMDGPU.csdata,"",@progbits
; Kernel info:
; codeLenInByte = 428
; TotalNumSgprs: 71
; NumVgprs: 120
; ScratchSize: 12
; MemoryBound: 0
; FloatMode: 240
; IeeeMode: 1
; LDSByteSize: 512 bytes/workgroup (compile time only)
; SGPRBlocks: 0
; VGPRBlocks: 7
; NumSGPRsForWavesPerEU: 71
; NumVGPRsForWavesPerEU: 120
; NamedBarCnt: 0
; Occupancy: 8
; WaveLimiterHint : 1
; COMPUTE_PGM_RSRC2:SCRATCH_EN: 1
; COMPUTE_PGM_RSRC2:USER_SGPR: 4
; COMPUTE_PGM_RSRC2:TRAP_HANDLER: 0
; COMPUTE_PGM_RSRC2:TGID_X_EN: 1
; COMPUTE_PGM_RSRC2:TGID_Y_EN: 1
; COMPUTE_PGM_RSRC2:TGID_Z_EN: 1
; COMPUTE_PGM_RSRC2:TIDIG_COMP_CNT: 0
	.text
	.p2alignl 7, 3214868480
	.fill 96, 4, 3214868480
	.section	.AMDGPU.gpr_maximums,"",@progbits
	.set amdgpu.max_num_vgpr, 120
	.set amdgpu.max_num_agpr, 0
	.set amdgpu.max_num_sgpr, 44
	.text
	.type	__hip_cuid_223c0c2100dc7086,@object ; @__hip_cuid_223c0c2100dc7086
	.section	.bss,"aw",@nobits
	.globl	__hip_cuid_223c0c2100dc7086
__hip_cuid_223c0c2100dc7086:
	.byte	0                               ; 0x0
	.size	__hip_cuid_223c0c2100dc7086, 1

	.ident	"AMD clang version 22.0.0git (https://github.com/RadeonOpenCompute/llvm-project roc-7.2.4 26084 f58b06dce1f9c15707c5f808fd002e18c2accf7e)"
	.section	".note.GNU-stack","",@progbits
	.addrsig
	.addrsig_sym __hip_cuid_223c0c2100dc7086
	.amdgpu_metadata
---
amdhsa.kernels:
  - .args:
      - .address_space:  global
        .offset:         0
        .size:           8
        .value_kind:     global_buffer
      - .offset:         8
        .size:           4
        .value_kind:     by_value
    .group_segment_fixed_size: 0
    .kernarg_segment_align: 8
    .kernarg_segment_size: 12
    .language:       OpenCL C
    .language_version:
      - 2
      - 0
    .max_flat_workgroup_size: 1024
    .name:           _Z18reduce_card_devicePii
    .private_segment_fixed_size: 0
    .sgpr_count:     10
    .sgpr_spill_count: 0
    .symbol:         _Z18reduce_card_devicePii.kd
    .uniform_work_group_size: 1
    .uses_dynamic_stack: false
    .vgpr_count:     3
    .vgpr_spill_count: 0
    .wavefront_size: 32
  - .args:
      - .address_space:  global
        .offset:         0
        .size:           8
        .value_kind:     global_buffer
      - .address_space:  global
        .offset:         8
        .size:           8
        .value_kind:     global_buffer
      - .offset:         16
        .size:           4
        .value_kind:     by_value
      - .offset:         20
        .size:           4
        .value_kind:     by_value
      - .offset:         24
        .size:           4
        .value_kind:     hidden_block_count_x
      - .offset:         28
        .size:           4
        .value_kind:     hidden_block_count_y
      - .offset:         32
        .size:           4
        .value_kind:     hidden_block_count_z
      - .offset:         36
        .size:           2
        .value_kind:     hidden_group_size_x
      - .offset:         38
        .size:           2
        .value_kind:     hidden_group_size_y
      - .offset:         40
        .size:           2
        .value_kind:     hidden_group_size_z
      - .offset:         42
        .size:           2
        .value_kind:     hidden_remainder_x
      - .offset:         44
        .size:           2
        .value_kind:     hidden_remainder_y
      - .offset:         46
        .size:           2
        .value_kind:     hidden_remainder_z
      - .offset:         64
        .size:           8
        .value_kind:     hidden_global_offset_x
      - .offset:         72
        .size:           8
        .value_kind:     hidden_global_offset_y
      - .offset:         80
        .size:           8
        .value_kind:     hidden_global_offset_z
      - .offset:         88
        .size:           2
        .value_kind:     hidden_grid_dims
    .group_segment_fixed_size: 0
    .kernarg_segment_align: 8
    .kernarg_segment_size: 280
    .language:       OpenCL C
    .language_version:
      - 2
      - 0
    .max_flat_workgroup_size: 1024
    .name:           _Z15compute_degreesPiS_ii
    .private_segment_fixed_size: 0
    .sgpr_count:     22
    .sgpr_spill_count: 0
    .symbol:         _Z15compute_degreesPiS_ii.kd
    .uniform_work_group_size: 1
    .uses_dynamic_stack: false
    .vgpr_count:     10
    .vgpr_spill_count: 0
    .wavefront_size: 32
  - .args:
      - .address_space:  global
        .offset:         0
        .size:           8
        .value_kind:     global_buffer
      - .address_space:  global
        .offset:         8
        .size:           8
        .value_kind:     global_buffer
      - .offset:         16
        .size:           4
        .value_kind:     by_value
      - .offset:         24
        .size:           4
        .value_kind:     hidden_block_count_x
      - .offset:         28
        .size:           4
        .value_kind:     hidden_block_count_y
      - .offset:         32
        .size:           4
        .value_kind:     hidden_block_count_z
      - .offset:         36
        .size:           2
        .value_kind:     hidden_group_size_x
      - .offset:         38
        .size:           2
        .value_kind:     hidden_group_size_y
      - .offset:         40
        .size:           2
        .value_kind:     hidden_group_size_z
      - .offset:         42
        .size:           2
        .value_kind:     hidden_remainder_x
      - .offset:         44
        .size:           2
        .value_kind:     hidden_remainder_y
      - .offset:         46
        .size:           2
        .value_kind:     hidden_remainder_z
      - .offset:         64
        .size:           8
        .value_kind:     hidden_global_offset_x
      - .offset:         72
        .size:           8
        .value_kind:     hidden_global_offset_y
      - .offset:         80
        .size:           8
        .value_kind:     hidden_global_offset_z
      - .offset:         88
        .size:           2
        .value_kind:     hidden_grid_dims
    .group_segment_fixed_size: 0
    .kernarg_segment_align: 8
    .kernarg_segment_size: 280
    .language:       OpenCL C
    .language_version:
      - 2
      - 0
    .max_flat_workgroup_size: 1024
    .name:           _Z26update_clustered_pnts_maskPcS_i
    .private_segment_fixed_size: 0
    .sgpr_count:     14
    .sgpr_spill_count: 0
    .symbol:         _Z26update_clustered_pnts_maskPcS_i.kd
    .uniform_work_group_size: 1
    .uses_dynamic_stack: false
    .vgpr_count:     11
    .vgpr_spill_count: 0
    .wavefront_size: 32
  - .args:
      - .offset:         0
        .size:           4
        .value_kind:     by_value
      - .address_space:  global
        .offset:         8
        .size:           8
        .value_kind:     global_buffer
      - .address_space:  global
        .offset:         16
        .size:           8
        .value_kind:     global_buffer
      - .address_space:  global
        .offset:         24
        .size:           8
        .value_kind:     global_buffer
      - .address_space:  global
        .offset:         32
        .size:           8
        .value_kind:     global_buffer
      - .address_space:  global
        .offset:         40
        .size:           8
        .value_kind:     global_buffer
      - .address_space:  global
        .offset:         48
        .size:           8
        .value_kind:     global_buffer
      - .address_space:  global
        .offset:         56
        .size:           8
        .value_kind:     global_buffer
      - .address_space:  global
        .offset:         64
        .size:           8
        .value_kind:     global_buffer
      - .address_space:  global
        .offset:         72
        .size:           8
        .value_kind:     global_buffer
      - .offset:         80
        .size:           4
        .value_kind:     by_value
      - .offset:         84
        .size:           4
        .value_kind:     by_value
      - .offset:         88
        .size:           4
        .value_kind:     by_value
      - .offset:         92
        .size:           4
        .value_kind:     by_value
      - .offset:         96
        .size:           4
        .value_kind:     hidden_block_count_x
      - .offset:         100
        .size:           4
        .value_kind:     hidden_block_count_y
      - .offset:         104
        .size:           4
        .value_kind:     hidden_block_count_z
      - .offset:         108
        .size:           2
        .value_kind:     hidden_group_size_x
      - .offset:         110
        .size:           2
        .value_kind:     hidden_group_size_y
      - .offset:         112
        .size:           2
        .value_kind:     hidden_group_size_z
      - .offset:         114
        .size:           2
        .value_kind:     hidden_remainder_x
      - .offset:         116
        .size:           2
        .value_kind:     hidden_remainder_y
      - .offset:         118
        .size:           2
        .value_kind:     hidden_remainder_z
      - .offset:         136
        .size:           8
        .value_kind:     hidden_global_offset_x
      - .offset:         144
        .size:           8
        .value_kind:     hidden_global_offset_y
      - .offset:         152
        .size:           8
        .value_kind:     hidden_global_offset_z
      - .offset:         160
        .size:           2
        .value_kind:     hidden_grid_dims
      - .offset:         176
        .size:           8
        .value_kind:     hidden_hostcall_buffer
      - .offset:         184
        .size:           8
        .value_kind:     hidden_multigrid_sync_arg
      - .offset:         192
        .size:           8
        .value_kind:     hidden_heap_v1
      - .offset:         200
        .size:           8
        .value_kind:     hidden_default_queue
      - .offset:         208
        .size:           8
        .value_kind:     hidden_completion_action
      - .offset:         296
        .size:           8
        .value_kind:     hidden_queue_ptr
    .group_segment_fixed_size: 776
    .kernarg_segment_align: 8
    .kernarg_segment_size: 352
    .language:       OpenCL C
    .language_version:
      - 2
      - 0
    .max_flat_workgroup_size: 1024
    .name:           _Z30trim_ungrouped_pnts_indr_arrayiPiPfS_PcS1_S_S_S0_S_iiif
    .private_segment_fixed_size: 12
    .sgpr_count:     54
    .sgpr_spill_count: 0
    .symbol:         _Z30trim_ungrouped_pnts_indr_arrayiPiPfS_PcS1_S_S_S0_S_iiif.kd
    .uniform_work_group_size: 1
    .uses_dynamic_stack: false
    .vgpr_count:     120
    .vgpr_spill_count: 0
    .wavefront_size: 32
  - .args:
      - .address_space:  global
        .offset:         0
        .size:           8
        .value_kind:     global_buffer
      - .address_space:  global
        .offset:         8
        .size:           8
        .value_kind:     global_buffer
      - .address_space:  global
        .offset:         16
        .size:           8
        .value_kind:     global_buffer
      - .address_space:  global
        .offset:         24
        .size:           8
        .value_kind:     global_buffer
      - .address_space:  global
        .offset:         32
        .size:           8
        .value_kind:     global_buffer
      - .address_space:  global
        .offset:         40
        .size:           8
        .value_kind:     global_buffer
      - .address_space:  global
        .offset:         48
        .size:           8
        .value_kind:     global_buffer
      - .address_space:  global
        .offset:         56
        .size:           8
        .value_kind:     global_buffer
      - .offset:         64
        .size:           4
        .value_kind:     by_value
      - .offset:         68
        .size:           4
        .value_kind:     by_value
      - .offset:         72
        .size:           4
        .value_kind:     by_value
      - .offset:         76
        .size:           4
        .value_kind:     by_value
      - .offset:         80
        .size:           4
        .value_kind:     by_value
      - .offset:         84
        .size:           4
        .value_kind:     by_value
      - .offset:         88
        .size:           4
        .value_kind:     by_value
      - .offset:         96
        .size:           4
        .value_kind:     hidden_block_count_x
      - .offset:         100
        .size:           4
        .value_kind:     hidden_block_count_y
      - .offset:         104
        .size:           4
        .value_kind:     hidden_block_count_z
      - .offset:         108
        .size:           2
        .value_kind:     hidden_group_size_x
      - .offset:         110
        .size:           2
        .value_kind:     hidden_group_size_y
      - .offset:         112
        .size:           2
        .value_kind:     hidden_group_size_z
      - .offset:         114
        .size:           2
        .value_kind:     hidden_remainder_x
      - .offset:         116
        .size:           2
        .value_kind:     hidden_remainder_y
      - .offset:         118
        .size:           2
        .value_kind:     hidden_remainder_z
      - .offset:         136
        .size:           8
        .value_kind:     hidden_global_offset_x
      - .offset:         144
        .size:           8
        .value_kind:     hidden_global_offset_y
      - .offset:         152
        .size:           8
        .value_kind:     hidden_global_offset_z
      - .offset:         160
        .size:           2
        .value_kind:     hidden_grid_dims
      - .offset:         176
        .size:           8
        .value_kind:     hidden_hostcall_buffer
      - .offset:         184
        .size:           8
        .value_kind:     hidden_multigrid_sync_arg
      - .offset:         192
        .size:           8
        .value_kind:     hidden_heap_v1
      - .offset:         200
        .size:           8
        .value_kind:     hidden_default_queue
      - .offset:         208
        .size:           8
        .value_kind:     hidden_completion_action
      - .offset:         296
        .size:           8
        .value_kind:     hidden_queue_ptr
    .group_segment_fixed_size: 512
    .kernarg_segment_align: 8
    .kernarg_segment_size: 352
    .language:       OpenCL C
    .language_version:
      - 2
      - 0
    .max_flat_workgroup_size: 1024
    .name:           _Z10QTC_devicePfPcS0_PiS1_S1_S_S1_iiifiii
    .private_segment_fixed_size: 12
    .sgpr_count:     71
    .sgpr_spill_count: 0
    .symbol:         _Z10QTC_devicePfPcS0_PiS1_S1_S_S1_iiifiii.kd
    .uniform_work_group_size: 1
    .uses_dynamic_stack: false
    .vgpr_count:     120
    .vgpr_spill_count: 0
    .wavefront_size: 32
amdhsa.target:   amdgcn-amd-amdhsa--gfx1250
amdhsa.version:
  - 1
  - 2
...

	.end_amdgpu_metadata
